;; amdgpu-corpus repo=ROCm/aiter kind=harvested arch=n/a opt=n/a

/root/src/amdgpu-assembly/repos/ROCm__aiter/hsa/gfx950/f4gemm/f4gemm_bf16_per1x32Fp4_BpreShuffle_64x1024.co:	file format elf64-amdgpu

Disassembly of section .text:

0000000000002c00 <_ZN5aiter42f4gemm_bf16_per1x32Fp4_BpreShuffle_64x1024E>:
	s_and_b32 s1, s1, 0xffff                                   // 000000002C00: 8601FF01 0000FFFF
	s_load_dwordx2 s[4:5], s[0:1], 0x0                         // 000000002C08: C0060100 00000000
	s_load_dwordx2 s[8:9], s[0:1], 0x10                        // 000000002C10: C0060200 00000010
	s_load_dwordx2 s[12:13], s[0:1], 0x20                      // 000000002C18: C0060300 00000020
	s_load_dwordx2 s[16:17], s[0:1], 0x30                      // 000000002C20: C0060400 00000030
	s_load_dword s41, s[0:1], 0x40                             // 000000002C28: C0020A40 00000040
	s_load_dword s42, s[0:1], 0x50                             // 000000002C30: C0020A80 00000050
	s_load_dword s36, s[0:1], 0x80                             // 000000002C38: C0020900 00000080
	s_load_dword s37, s[0:1], 0xa0                             // 000000002C40: C0020940 000000A0
	s_load_dword s38, s[0:1], 0xc0                             // 000000002C48: C0020980 000000C0
	s_load_dword s43, s[0:1], 0xe0                             // 000000002C50: C0020AC0 000000E0
	s_load_dword s44, s[0:1], 0xf0                             // 000000002C58: C0020B00 000000F0
	s_load_dword s45, s[0:1], 0x100                            // 000000002C60: C0020B40 00000100
	s_load_dwordx2 s[20:21], s[0:1], 0x110                     // 000000002C68: C0060500 00000110
	s_load_dwordx2 s[24:25], s[0:1], 0x120                     // 000000002C70: C0060600 00000120
	s_load_dword s39, s[0:1], 0x130                            // 000000002C78: C00209C0 00000130
	s_load_dword s40, s[0:1], 0x150                            // 000000002C80: C0020A00 00000150
	v_lshrrev_b32_e32 v1, 10, v0                               // 000000002C88: 2002008A
	v_lshrrev_b32_e32 v2, 10, v1                               // 000000002C8C: 2004028A
	v_and_b32_e32 v2, 0x3ff, v2                                // 000000002C90: 260404FF 000003FF
	v_and_b32_e32 v1, 0x3ff, v1                                // 000000002C98: 260202FF 000003FF
	v_and_b32_e32 v0, 0x3ff, v0                                // 000000002CA0: 260000FF 000003FF
	v_lshrrev_b32_e32 v3, 6, v0                                // 000000002CA8: 20060086
	v_and_b32_e32 v0, 63, v0                                   // 000000002CAC: 260000BF
	s_mov_b32 s47, s2                                          // 000000002CB0: BEAF0002
	s_mov_b32 s48, s3                                          // 000000002CB4: BEB00003
	v_readfirstlane_b32 s46, v3                                // 000000002CB8: 7E5C0503
	s_waitcnt lgkmcnt(0)                                       // 000000002CBC: BF8CC07F
	s_add_u32 s51, s44, 0x3ff                                  // 000000002CC0: 8033FF2C 000003FF
	s_lshr_b32 s50, s51, 10                                    // 000000002CC8: 8F328A33
	s_mul_i32 s49, s50, s48                                    // 000000002CCC: 92313032
	s_add_i32 s49, s49, s47                                    // 000000002CD0: 81312F31
	s_add_u32 s51, s43, 63                                     // 000000002CD4: 8033BF2B
	s_lshr_b32 s62, s51, 6                                     // 000000002CD8: 8F3E8633
	s_lshl_b32 s62, s62, 5                                     // 000000002CDC: 8E3E853E
	s_mov_b32 s47, 0                                           // 000000002CE0: BEAF0080

0000000000002ce4 <label_0039>:
	s_cmp_lt_i32 s49, s62                                      // 000000002CE4: BF043E31
	s_cbranch_scc1 label_003E                                  // 000000002CE8: BF850003
	s_sub_i32 s49, s49, s62                                    // 000000002CEC: 81B13E31
	s_add_i32 s47, s47, 32                                     // 000000002CF0: 812FA02F
	s_branch label_0039                                        // 000000002CF4: BF82FFFB

0000000000002cf8 <label_003E>:
	s_sub_i32 s50, s50, s47                                    // 000000002CF8: 81B22F32
	s_cmp_lt_i32 s50, 32                                       // 000000002CFC: BF04A032
	s_cbranch_scc1 label_0044                                  // 000000002D00: BF850003
	s_lshr_b32 s48, s49, 5                                     // 000000002D04: 8F308531
	s_and_b32 s62, s49, 31                                     // 000000002D08: 863E9F31
	s_branch label_0064                                        // 000000002D0C: BF820020

0000000000002d10 <label_0044>:
	v_cvt_f32_u32_e32 v4, s50                                  // 000000002D10: 7E080C32
	s_sub_i32 s48, 0, s50                                      // 000000002D14: 81B03280
	v_rcp_iflag_f32_e32 v4, v4                                 // 000000002D18: 7E084704
	s_nop 0                                                    // 000000002D1C: BF800000
	v_mul_f32_e32 v4, 0x4f7ffffe, v4                           // 000000002D20: 0A0808FF 4F7FFFFE
	v_cvt_u32_f32_e32 v4, v4                                   // 000000002D28: 7E080F04
	v_mul_lo_u32 v5, s48, v4                                   // 000000002D2C: D2850005 00020830
	v_mul_hi_u32 v5, v4, v5                                    // 000000002D34: D2860005 00020B04
	v_add_u32_e32 v4, v4, v5                                   // 000000002D3C: 68080B04
	v_mul_hi_u32 v4, s49, v4                                   // 000000002D40: D2860004 00020831
	v_mul_lo_u32 v5, v4, s50                                   // 000000002D48: D2850005 00006504
	v_sub_u32_e32 v7, s49, v5                                  // 000000002D50: 6A0E0A31
	v_add_u32_e32 v6, 1, v4                                    // 000000002D54: 680C0881
	v_cmp_le_u32_e32 vcc, s50, v7                              // 000000002D58: 7D960E32
	v_subrev_u32_e32 v5, s50, v7                               // 000000002D5C: 6C0A0E32
	s_nop 0                                                    // 000000002D60: BF800000
	v_cndmask_b32_e32 v4, v4, v6, vcc                          // 000000002D64: 00080D04
	v_cndmask_b32_e32 v7, v7, v5, vcc                          // 000000002D68: 000E0B07
	v_add_u32_e32 v5, 1, v4                                    // 000000002D6C: 680A0881
	v_cmp_le_u32_e32 vcc, s50, v7                              // 000000002D70: 7D960E32
	s_nop 1                                                    // 000000002D74: BF800001
	v_cndmask_b32_e32 v7, v4, v5, vcc                          // 000000002D78: 000E0B04
	s_nop 3                                                    // 000000002D7C: BF800003
	v_readfirstlane_b32 s48, v7                                // 000000002D80: 7E600507
	s_nop 3                                                    // 000000002D84: BF800003
	s_mul_i32 s62, s50, s48                                    // 000000002D88: 923E3032
	s_sub_i32 s62, s49, s62                                    // 000000002D8C: 81BE3E31

0000000000002d90 <label_0064>:
	s_add_i32 s47, s62, s47                                    // 000000002D90: 812F2F3E
	s_lshr_b32 s37, s37, 1                                     // 000000002D94: 8F258125
	s_mul_i32 s62, s48, 64                                     // 000000002D98: 923EC030
	s_mul_hi_u32 s63, s37, s62                                 // 000000002D9C: 963F3E25
	s_add_u32 s13, s13, s63                                    // 000000002DA0: 800D3F0D
	s_mul_i32 s63, s37, s62                                    // 000000002DA4: 923F3E25
	s_add_u32 s12, s12, s63                                    // 000000002DA8: 800C3F0C
	s_addc_u32 s13, s13, 0                                     // 000000002DAC: 820D800D
	s_sub_i32 s63, s43, s62                                    // 000000002DB0: 81BF3E2B
	s_cmp_lt_u32 s63, 64                                       // 000000002DB4: BF0AC03F
	s_cselect_b32 s62, s63, 64                                 // 000000002DB8: 853EC03F
	s_mul_i32 s14, s37, s62                                    // 000000002DBC: 920E3E25
	s_mov_b32 s15, 0x20000                                     // 000000002DC0: BE8F00FF 00020000
	v_lshrrev_b32_e32 v4, 3, v0                                // 000000002DC8: 20080083
	v_lshrrev_b32_e32 v5, 2, v4                                // 000000002DCC: 200A0882
	v_lshlrev_b32_e32 v5, 4, v5                                // 000000002DD0: 240A0A84
	v_and_b32_e32 v4, 3, v4                                    // 000000002DD4: 26080883
	v_lshrrev_b32_e32 v6, 1, v4                                // 000000002DD8: 200C0881
	v_lshlrev_b32_e32 v6, 2, v6                                // 000000002DDC: 240C0C82
	v_add_u32_e32 v5, v5, v6                                   // 000000002DE0: 680A0D05
	v_and_b32_e32 v4, 1, v4                                    // 000000002DE4: 26080881
	v_add_u32_e32 v5, v5, v4                                   // 000000002DE8: 680A0905
	v_mul_lo_u32 v212, s37, v5                                 // 000000002DEC: D28500D4 00020A25
	v_and_b32_e32 v4, 7, v0                                    // 000000002DF4: 26080087
	v_lshlrev_b32_e32 v4, 4, v4                                // 000000002DF8: 24080884
	v_add_u32_e32 v212, v4, v212                               // 000000002DFC: 69A9A904
	s_lshr_b32 s62, s46, 1                                     // 000000002E00: 8F3E812E
	s_mul_i32 s62, s62, 8                                      // 000000002E04: 923E883E
	s_and_b32 s63, s46, 1                                      // 000000002E08: 863F812E
	s_mul_i32 s63, s63, 2                                      // 000000002E0C: 923F823F
	s_add_u32 s62, s62, s63                                    // 000000002E10: 803E3F3E
	s_mul_i32 s62, s37, s62                                    // 000000002E14: 923E3E25
	v_add_u32_e32 v212, s62, v212                              // 000000002E18: 69A9A83E
	s_mul_i32 s62, s37, 32                                     // 000000002E1C: 923EA025
	v_add_u32_e32 v213, s62, v212                              // 000000002E20: 69ABA83E
	s_mul_i32 s64, 0x420, s46                                  // 000000002E24: 92402EFF 00000420
	s_add_u32 s64, 0x800, s64                                  // 000000002E2C: 804040FF 00000800
	v_and_b32_e32 v4, 15, v0                                   // 000000002E34: 2608008F
	v_lshrrev_b32_e32 v5, 3, v4                                // 000000002E38: 200A0883
	v_mul_i32_i24_e32 v5, 2, v5                                // 000000002E3C: 0C0A0A82
	v_and_b32_e32 v4, 3, v0                                    // 000000002E40: 26080083
	v_lshrrev_b32_e32 v6, 1, v4                                // 000000002E44: 200C0881
	v_add_u32_e32 v4, v5, v6                                   // 000000002E48: 68080D05
	v_mul_i32_i24_e32 v214, 0x420, v4                          // 000000002E4C: 0DAC08FF 00000420
	v_and_b32_e32 v4, 7, v0                                    // 000000002E54: 26080087
	v_lshrrev_b32_e32 v5, 2, v4                                // 000000002E58: 200A0882
	v_mul_i32_i24_e32 v5, 0x100, v5                            // 000000002E5C: 0C0A0AFF 00000100
	v_add_u32_e32 v214, v5, v214                               // 000000002E64: 69ADAD05
	v_and_b32_e32 v4, 1, v0                                    // 000000002E68: 26080081
	v_mul_i32_i24_e32 v6, 0x80, v4                             // 000000002E6C: 0C0C08FF 00000080
	v_add_u32_e32 v214, v6, v214                               // 000000002E74: 69ADAD06
	v_lshrrev_b32_e32 v4, 4, v0                                // 000000002E78: 20080084
	v_mul_i32_i24_e32 v4, 16, v4                               // 000000002E7C: 0C080890
	v_add_u32_e32 v214, v4, v214                               // 000000002E80: 69ADAD04
	v_add_u32_e32 v214, 0x800, v214                            // 000000002E84: 69ADACFF 00000800
	v_add_u32_e32 v215, 0x2100, v214                           // 000000002E8C: 69AFACFF 00002100
	s_mul_i32 s62, s48, 64                                     // 000000002E94: 923EC030
	s_mul_hi_u32 s63, s39, s62                                 // 000000002E98: 963F3E27
	s_add_u32 s21, s21, s63                                    // 000000002E9C: 80153F15
	s_mul_i32 s63, s39, s62                                    // 000000002EA0: 923F3E27
	s_add_u32 s20, s20, s63                                    // 000000002EA4: 80143F14
	s_addc_u32 s21, s21, 0                                     // 000000002EA8: 82158015
	s_add_u32 s63, s43, 31                                     // 000000002EAC: 803F9F2B
	s_lshr_b32 s63, s63, 5                                     // 000000002EB0: 8F3F853F
	s_lshl_b32 s63, s63, 5                                     // 000000002EB4: 8E3F853F
	s_sub_i32 s63, s63, s62                                    // 000000002EB8: 81BF3E3F
	s_cmp_lt_u32 s63, 64                                       // 000000002EBC: BF0AC03F
	s_cselect_b32 s62, s63, 64                                 // 000000002EC0: 853EC03F
	s_mul_i32 s22, s39, s62                                    // 000000002EC4: 92163E27
	s_mov_b32 s23, 0x20000                                     // 000000002EC8: BE9700FF 00020000
	v_lshlrev_b32_e32 v216, 2, v0                              // 000000002ED0: 25B00082
	s_mul_i32 s63, s46, 32                                     // 000000002ED4: 923FA02E
	s_mul_i32 s63, s63, s39                                    // 000000002ED8: 923F273F
	v_add_u32_e32 v216, s63, v216                              // 000000002EDC: 69B1B03F
	s_mul_i32 s65, s46, 0x100                                  // 000000002EE0: 9241FF2E 00000100
	s_add_i32 s65, s65, 0                                      // 000000002EE8: 81418041
	v_lshlrev_b32_e32 v217, 2, v0                              // 000000002EEC: 25B20082
	v_add_u32_e32 v217, 0, v217                                // 000000002EF0: 69B3B280
	s_lshr_b32 s38, s38, 1                                     // 000000002EF4: 8F268126
	s_mul_i32 s62, s47, 0x400                                  // 000000002EF8: 923EFF2F 00000400
	s_mul_hi_u32 s63, s38, s62                                 // 000000002F00: 963F3E26
	s_add_u32 s17, s17, s63                                    // 000000002F04: 80113F11
	s_mul_i32 s63, s38, s62                                    // 000000002F08: 923F3E26
	s_add_u32 s16, s16, s63                                    // 000000002F0C: 80103F10
	s_addc_u32 s17, s17, 0                                     // 000000002F10: 82118011
	s_sub_i32 s63, s44, s62                                    // 000000002F14: 81BF3E2C
	s_cmp_lt_u32 s63, 0x400                                    // 000000002F18: BF0AFF3F 00000400
	s_cselect_b32 s62, s63, 0x400                              // 000000002F20: 853EFF3F 00000400
	s_mul_i32 s18, s38, s62                                    // 000000002F28: 92123E26
	s_mov_b32 s19, 0x20000                                     // 000000002F2C: BE9300FF 00020000
	v_lshlrev_b32_e32 v218, 4, v0                              // 000000002F34: 25B40084
	s_mul_i32 s63, s46, 0x100                                  // 000000002F38: 923FFF2E 00000100
	s_mul_i32 s62, s63, s38                                    // 000000002F40: 923E263F
	v_add_u32_e32 v218, s62, v218                              // 000000002F44: 69B5B43E
	s_mul_i32 s62, 16, s38                                     // 000000002F48: 923E2690
	v_add_u32_e32 v219, s62, v218                              // 000000002F4C: 69B7B43E
	v_add_u32_e32 v220, s62, v219                              // 000000002F50: 69B9B63E
	v_add_u32_e32 v221, s62, v220                              // 000000002F54: 69BBB83E
	v_add_u32_e32 v222, s62, v221                              // 000000002F58: 69BDBA3E
	v_add_u32_e32 v223, s62, v222                              // 000000002F5C: 69BFBC3E
	v_add_u32_e32 v224, s62, v223                              // 000000002F60: 69C1BE3E
	v_add_u32_e32 v225, s62, v224                              // 000000002F64: 69C3C03E
	v_add_u32_e32 v226, s62, v225                              // 000000002F68: 69C5C23E
	v_add_u32_e32 v227, s62, v226                              // 000000002F6C: 69C7C43E
	v_add_u32_e32 v228, s62, v227                              // 000000002F70: 69C9C63E
	v_add_u32_e32 v229, s62, v228                              // 000000002F74: 69CBC83E
	v_add_u32_e32 v230, s62, v229                              // 000000002F78: 69CDCA3E
	v_add_u32_e32 v231, s62, v230                              // 000000002F7C: 69CFCC3E
	v_add_u32_e32 v232, s62, v231                              // 000000002F80: 69D1CE3E
	v_add_u32_e32 v233, s62, v232                              // 000000002F84: 69D3D03E
	s_mul_i32 s62, s47, 0x400                                  // 000000002F88: 923EFF2F 00000400
	s_mul_hi_u32 s63, s40, s62                                 // 000000002F90: 963F3E28
	s_add_u32 s25, s25, s63                                    // 000000002F94: 80193F19
	s_mul_i32 s63, s40, s62                                    // 000000002F98: 923F3E28
	s_add_u32 s24, s24, s63                                    // 000000002F9C: 80183F18
	s_addc_u32 s25, s25, 0                                     // 000000002FA0: 82198019
	s_sub_i32 s63, s44, s62                                    // 000000002FA4: 81BF3E2C
	s_cmp_lt_u32 s63, 0x400                                    // 000000002FA8: BF0AFF3F 00000400
	s_cselect_b32 s62, s63, 0x400                              // 000000002FB0: 853EFF3F 00000400
	s_mul_i32 s26, s40, s62                                    // 000000002FB8: 921A3E28
	s_mov_b32 s27, 0x20000                                     // 000000002FBC: BE9B00FF 00020000
	v_lshlrev_b32_e32 v234, 2, v0                              // 000000002FC4: 25D40082
	s_mul_i32 s63, s46, 0x100                                  // 000000002FC8: 923FFF2E 00000100
	s_mul_i32 s63, s63, s40                                    // 000000002FD0: 923F283F
	v_add_u32_e32 v234, s63, v234                              // 000000002FD4: 69D5D43F
	s_mul_i32 s62, 32, s40                                     // 000000002FD8: 923E28A0
	v_add_u32_e32 v235, s62, v234                              // 000000002FDC: 69D7D43E
	v_add_u32_e32 v236, s62, v235                              // 000000002FE0: 69D9D63E
	v_add_u32_e32 v237, s62, v236                              // 000000002FE4: 69DBD83E
	v_add_u32_e32 v238, s62, v237                              // 000000002FE8: 69DDDA3E
	v_add_u32_e32 v239, s62, v238                              // 000000002FEC: 69DFDC3E
	v_add_u32_e32 v240, s62, v239                              // 000000002FF0: 69E1DE3E
	v_add_u32_e32 v241, s62, v240                              // 000000002FF4: 69E3E03E
	s_mov_b32 s66, 0x80                                        // 000000002FF8: BEC200FF 00000080
	s_mov_b32 s67, 0x800                                       // 000000003000: BEC300FF 00000800
	s_mov_b32 s68, 0x100                                       // 000000003008: BEC400FF 00000100
	s_mov_b32 s69, 0x100                                       // 000000003010: BEC500FF 00000100
	s_mov_b32 s60, 0                                           // 000000003018: BEBC0080
	s_mov_b32 s61, s45                                         // 00000000301C: BEBD002D
	s_add_u32 m0, 0, s65                                       // 000000003020: 807C4180
	buffer_load_dword v216, s[20:23], 0 offen lds              // 000000003024: E0511000 800500D8
	v_accvgpr_write_b32 a0, 0                                  // 00000000302C: D3D94000 18000080
	v_accvgpr_write_b32 a1, 0                                  // 000000003034: D3D94001 18000080
	v_accvgpr_write_b32 a2, 0                                  // 00000000303C: D3D94002 18000080
	v_accvgpr_write_b32 a3, 0                                  // 000000003044: D3D94003 18000080
	v_accvgpr_write_b32 a4, 0                                  // 00000000304C: D3D94004 18000080
	v_accvgpr_write_b32 a5, 0                                  // 000000003054: D3D94005 18000080
	s_add_u32 m0, 0, s64                                       // 00000000305C: 807C4080
	buffer_load_dwordx4 v212, s[12:15], 0 offen lds            // 000000003060: E05D1000 800300D4
	v_accvgpr_write_b32 a6, 0                                  // 000000003068: D3D94006 18000080
	v_accvgpr_write_b32 a7, 0                                  // 000000003070: D3D94007 18000080
	v_accvgpr_write_b32 a8, 0                                  // 000000003078: D3D94008 18000080
	v_accvgpr_write_b32 a9, 0                                  // 000000003080: D3D94009 18000080
	v_accvgpr_write_b32 a10, 0                                 // 000000003088: D3D9400A 18000080
	v_accvgpr_write_b32 a11, 0                                 // 000000003090: D3D9400B 18000080
	s_add_u32 m0, 0x1080, s64                                  // 000000003098: 807C40FF 00001080
	buffer_load_dwordx4 v213, s[12:15], 0 offen lds            // 0000000030A0: E05D1000 800300D5
	v_accvgpr_write_b32 a12, 0                                 // 0000000030A8: D3D9400C 18000080
	v_accvgpr_write_b32 a13, 0                                 // 0000000030B0: D3D9400D 18000080
	v_accvgpr_write_b32 a14, 0                                 // 0000000030B8: D3D9400E 18000080
	v_accvgpr_write_b32 a15, 0                                 // 0000000030C0: D3D9400F 18000080
	v_accvgpr_write_b32 a16, 0                                 // 0000000030C8: D3D94010 18000080
	v_accvgpr_write_b32 a17, 0                                 // 0000000030D0: D3D94011 18000080
	buffer_load_dwordx4 v[72:75], v218, s[16:19], 0 offen      // 0000000030D8: E05C1000 800448DA
	v_accvgpr_write_b32 a18, 0                                 // 0000000030E0: D3D94012 18000080
	v_accvgpr_write_b32 a19, 0                                 // 0000000030E8: D3D94013 18000080
	v_accvgpr_write_b32 a20, 0                                 // 0000000030F0: D3D94014 18000080
	v_accvgpr_write_b32 a21, 0                                 // 0000000030F8: D3D94015 18000080
	v_accvgpr_write_b32 a22, 0                                 // 000000003100: D3D94016 18000080
	v_accvgpr_write_b32 a23, 0                                 // 000000003108: D3D94017 18000080
	buffer_load_dwordx4 v[76:79], v219, s[16:19], 0 offen      // 000000003110: E05C1000 80044CDB
	v_accvgpr_write_b32 a24, 0                                 // 000000003118: D3D94018 18000080
	v_accvgpr_write_b32 a25, 0                                 // 000000003120: D3D94019 18000080
	v_accvgpr_write_b32 a26, 0                                 // 000000003128: D3D9401A 18000080
	v_accvgpr_write_b32 a27, 0                                 // 000000003130: D3D9401B 18000080
	v_accvgpr_write_b32 a28, 0                                 // 000000003138: D3D9401C 18000080
	v_accvgpr_write_b32 a29, 0                                 // 000000003140: D3D9401D 18000080
	buffer_load_dwordx4 v[80:83], v218, s[16:19], 0 offen offset:1024// 000000003148: E05C1400 800450DA
	v_accvgpr_write_b32 a30, 0                                 // 000000003150: D3D9401E 18000080
	v_accvgpr_write_b32 a31, 0                                 // 000000003158: D3D9401F 18000080
	v_accvgpr_write_b32 a32, 0                                 // 000000003160: D3D94020 18000080
	v_accvgpr_write_b32 a33, 0                                 // 000000003168: D3D94021 18000080
	v_accvgpr_write_b32 a34, 0                                 // 000000003170: D3D94022 18000080
	v_accvgpr_write_b32 a35, 0                                 // 000000003178: D3D94023 18000080
	buffer_load_dwordx4 v[84:87], v219, s[16:19], 0 offen offset:1024// 000000003180: E05C1400 800454DB
	v_accvgpr_write_b32 a36, 0                                 // 000000003188: D3D94024 18000080
	v_accvgpr_write_b32 a37, 0                                 // 000000003190: D3D94025 18000080
	v_accvgpr_write_b32 a38, 0                                 // 000000003198: D3D94026 18000080
	v_accvgpr_write_b32 a39, 0                                 // 0000000031A0: D3D94027 18000080
	v_accvgpr_write_b32 a40, 0                                 // 0000000031A8: D3D94028 18000080
	v_accvgpr_write_b32 a41, 0                                 // 0000000031B0: D3D94029 18000080
	buffer_load_dword v204, v234, s[24:27], 0 offen            // 0000000031B8: E0501000 8006CCEA
	v_accvgpr_write_b32 a42, 0                                 // 0000000031C0: D3D9402A 18000080
	v_accvgpr_write_b32 a43, 0                                 // 0000000031C8: D3D9402B 18000080
	v_accvgpr_write_b32 a44, 0                                 // 0000000031D0: D3D9402C 18000080
	v_accvgpr_write_b32 a45, 0                                 // 0000000031D8: D3D9402D 18000080
	v_accvgpr_write_b32 a46, 0                                 // 0000000031E0: D3D9402E 18000080
	v_accvgpr_write_b32 a47, 0                                 // 0000000031E8: D3D9402F 18000080
	s_add_u32 s62, 0x100, s60                                  // 0000000031F0: 803E3CFF 00000100
	s_cmp_lt_u32 s62, s61                                      // 0000000031F8: BF0A3D3E
	s_cselect_b32 s66, s66, 0                                  // 0000000031FC: 85428042
	s_cselect_b32 s68, s68, 0                                  // 000000003200: 85448044
	s_add_u32 s12, s12, s66                                    // 000000003204: 800C420C
	s_addc_u32 s13, 0, s13                                     // 000000003208: 820D0D80
	s_sub_u32 s14, s14, s66                                    // 00000000320C: 808E420E
	s_add_u32 s20, s20, s68                                    // 000000003210: 80144414
	s_addc_u32 s21, 0, s21                                     // 000000003214: 82151580
	s_sub_u32 s22, s22, s68                                    // 000000003218: 80964416
	buffer_load_dwordx4 v[88:91], v220, s[16:19], 0 offen      // 00000000321C: E05C1000 800458DC
	v_accvgpr_write_b32 a48, 0                                 // 000000003224: D3D94030 18000080
	v_accvgpr_write_b32 a49, 0                                 // 00000000322C: D3D94031 18000080
	v_accvgpr_write_b32 a50, 0                                 // 000000003234: D3D94032 18000080
	v_accvgpr_write_b32 a51, 0                                 // 00000000323C: D3D94033 18000080
	v_accvgpr_write_b32 a52, 0                                 // 000000003244: D3D94034 18000080
	v_accvgpr_write_b32 a53, 0                                 // 00000000324C: D3D94035 18000080
	buffer_load_dwordx4 v[92:95], v221, s[16:19], 0 offen      // 000000003254: E05C1000 80045CDD
	v_accvgpr_write_b32 a54, 0                                 // 00000000325C: D3D94036 18000080
	v_accvgpr_write_b32 a55, 0                                 // 000000003264: D3D94037 18000080
	v_accvgpr_write_b32 a56, 0                                 // 00000000326C: D3D94038 18000080
	v_accvgpr_write_b32 a57, 0                                 // 000000003274: D3D94039 18000080
	v_accvgpr_write_b32 a58, 0                                 // 00000000327C: D3D9403A 18000080
	v_accvgpr_write_b32 a59, 0                                 // 000000003284: D3D9403B 18000080
	buffer_load_dwordx4 v[96:99], v220, s[16:19], 0 offen offset:1024// 00000000328C: E05C1400 800460DC
	v_accvgpr_write_b32 a60, 0                                 // 000000003294: D3D9403C 18000080
	v_accvgpr_write_b32 a61, 0                                 // 00000000329C: D3D9403D 18000080
	v_accvgpr_write_b32 a62, 0                                 // 0000000032A4: D3D9403E 18000080
	v_accvgpr_write_b32 a63, 0                                 // 0000000032AC: D3D9403F 18000080
	v_accvgpr_write_b32 a64, 0                                 // 0000000032B4: D3D94040 18000080
	v_accvgpr_write_b32 a65, 0                                 // 0000000032BC: D3D94041 18000080
	buffer_load_dwordx4 v[100:103], v221, s[16:19], 0 offen offset:1024// 0000000032C4: E05C1400 800464DD
	v_accvgpr_write_b32 a66, 0                                 // 0000000032CC: D3D94042 18000080
	v_accvgpr_write_b32 a67, 0                                 // 0000000032D4: D3D94043 18000080
	v_accvgpr_write_b32 a68, 0                                 // 0000000032DC: D3D94044 18000080
	v_accvgpr_write_b32 a69, 0                                 // 0000000032E4: D3D94045 18000080
	v_accvgpr_write_b32 a70, 0                                 // 0000000032EC: D3D94046 18000080
	v_accvgpr_write_b32 a71, 0                                 // 0000000032F4: D3D94047 18000080
	buffer_load_dword v205, v235, s[24:27], 0 offen            // 0000000032FC: E0501000 8006CDEB
	v_accvgpr_write_b32 a72, 0                                 // 000000003304: D3D94048 18000080
	v_accvgpr_write_b32 a73, 0                                 // 00000000330C: D3D94049 18000080
	v_accvgpr_write_b32 a74, 0                                 // 000000003314: D3D9404A 18000080
	v_accvgpr_write_b32 a75, 0                                 // 00000000331C: D3D9404B 18000080
	v_accvgpr_write_b32 a76, 0                                 // 000000003324: D3D9404C 18000080
	v_accvgpr_write_b32 a77, 0                                 // 00000000332C: D3D9404D 18000080
	buffer_load_dwordx4 v[104:107], v222, s[16:19], 0 offen    // 000000003334: E05C1000 800468DE
	v_accvgpr_write_b32 a78, 0                                 // 00000000333C: D3D9404E 18000080
	v_accvgpr_write_b32 a79, 0                                 // 000000003344: D3D9404F 18000080
	v_accvgpr_write_b32 a80, 0                                 // 00000000334C: D3D94050 18000080
	v_accvgpr_write_b32 a81, 0                                 // 000000003354: D3D94051 18000080
	v_accvgpr_write_b32 a82, 0                                 // 00000000335C: D3D94052 18000080
	v_accvgpr_write_b32 a83, 0                                 // 000000003364: D3D94053 18000080
	buffer_load_dwordx4 v[108:111], v223, s[16:19], 0 offen    // 00000000336C: E05C1000 80046CDF
	v_accvgpr_write_b32 a84, 0                                 // 000000003374: D3D94054 18000080
	v_accvgpr_write_b32 a85, 0                                 // 00000000337C: D3D94055 18000080
	v_accvgpr_write_b32 a86, 0                                 // 000000003384: D3D94056 18000080
	v_accvgpr_write_b32 a87, 0                                 // 00000000338C: D3D94057 18000080
	v_accvgpr_write_b32 a88, 0                                 // 000000003394: D3D94058 18000080
	v_accvgpr_write_b32 a89, 0                                 // 00000000339C: D3D94059 18000080
	buffer_load_dwordx4 v[112:115], v222, s[16:19], 0 offen offset:1024// 0000000033A4: E05C1400 800470DE
	v_accvgpr_write_b32 a90, 0                                 // 0000000033AC: D3D9405A 18000080
	v_accvgpr_write_b32 a91, 0                                 // 0000000033B4: D3D9405B 18000080
	v_accvgpr_write_b32 a92, 0                                 // 0000000033BC: D3D9405C 18000080
	v_accvgpr_write_b32 a93, 0                                 // 0000000033C4: D3D9405D 18000080
	v_accvgpr_write_b32 a94, 0                                 // 0000000033CC: D3D9405E 18000080
	v_accvgpr_write_b32 a95, 0                                 // 0000000033D4: D3D9405F 18000080
	buffer_load_dwordx4 v[116:119], v223, s[16:19], 0 offen offset:1024// 0000000033DC: E05C1400 800474DF
	v_accvgpr_write_b32 a96, 0                                 // 0000000033E4: D3D94060 18000080
	v_accvgpr_write_b32 a97, 0                                 // 0000000033EC: D3D94061 18000080
	v_accvgpr_write_b32 a98, 0                                 // 0000000033F4: D3D94062 18000080
	v_accvgpr_write_b32 a99, 0                                 // 0000000033FC: D3D94063 18000080
	v_accvgpr_write_b32 a100, 0                                // 000000003404: D3D94064 18000080
	v_accvgpr_write_b32 a101, 0                                // 00000000340C: D3D94065 18000080
	buffer_load_dword v206, v236, s[24:27], 0 offen            // 000000003414: E0501000 8006CEEC
	v_accvgpr_write_b32 a102, 0                                // 00000000341C: D3D94066 18000080
	v_accvgpr_write_b32 a103, 0                                // 000000003424: D3D94067 18000080
	v_accvgpr_write_b32 a104, 0                                // 00000000342C: D3D94068 18000080
	v_accvgpr_write_b32 a105, 0                                // 000000003434: D3D94069 18000080
	v_accvgpr_write_b32 a106, 0                                // 00000000343C: D3D9406A 18000080
	v_accvgpr_write_b32 a107, 0                                // 000000003444: D3D9406B 18000080
	v_accvgpr_write_b32 a108, 0                                // 00000000344C: D3D9406C 18000080
	v_accvgpr_write_b32 a109, 0                                // 000000003454: D3D9406D 18000080
	v_accvgpr_write_b32 a110, 0                                // 00000000345C: D3D9406E 18000080
	v_accvgpr_write_b32 a111, 0                                // 000000003464: D3D9406F 18000080
	v_accvgpr_write_b32 a112, 0                                // 00000000346C: D3D94070 18000080
	v_accvgpr_write_b32 a113, 0                                // 000000003474: D3D94071 18000080
	v_accvgpr_write_b32 a114, 0                                // 00000000347C: D3D94072 18000080
	v_accvgpr_write_b32 a115, 0                                // 000000003484: D3D94073 18000080
	v_accvgpr_write_b32 a116, 0                                // 00000000348C: D3D94074 18000080
	v_accvgpr_write_b32 a117, 0                                // 000000003494: D3D94075 18000080
	v_accvgpr_write_b32 a118, 0                                // 00000000349C: D3D94076 18000080
	v_accvgpr_write_b32 a119, 0                                // 0000000034A4: D3D94077 18000080
	v_accvgpr_write_b32 a120, 0                                // 0000000034AC: D3D94078 18000080
	v_accvgpr_write_b32 a121, 0                                // 0000000034B4: D3D94079 18000080
	v_accvgpr_write_b32 a122, 0                                // 0000000034BC: D3D9407A 18000080
	v_accvgpr_write_b32 a123, 0                                // 0000000034C4: D3D9407B 18000080
	v_accvgpr_write_b32 a124, 0                                // 0000000034CC: D3D9407C 18000080
	v_accvgpr_write_b32 a125, 0                                // 0000000034D4: D3D9407D 18000080
	v_accvgpr_write_b32 a126, 0                                // 0000000034DC: D3D9407E 18000080
	v_accvgpr_write_b32 a127, 0                                // 0000000034E4: D3D9407F 18000080
	v_accvgpr_write_b32 a128, 0                                // 0000000034EC: D3D94080 18000080
	v_accvgpr_write_b32 a129, 0                                // 0000000034F4: D3D94081 18000080
	v_accvgpr_write_b32 a130, 0                                // 0000000034FC: D3D94082 18000080
	v_accvgpr_write_b32 a131, 0                                // 000000003504: D3D94083 18000080
	v_accvgpr_write_b32 a132, 0                                // 00000000350C: D3D94084 18000080
	v_accvgpr_write_b32 a133, 0                                // 000000003514: D3D94085 18000080
	v_accvgpr_write_b32 a134, 0                                // 00000000351C: D3D94086 18000080
	v_accvgpr_write_b32 a135, 0                                // 000000003524: D3D94087 18000080
	v_accvgpr_write_b32 a136, 0                                // 00000000352C: D3D94088 18000080
	v_accvgpr_write_b32 a137, 0                                // 000000003534: D3D94089 18000080
	v_accvgpr_write_b32 a138, 0                                // 00000000353C: D3D9408A 18000080
	v_accvgpr_write_b32 a139, 0                                // 000000003544: D3D9408B 18000080
	v_accvgpr_write_b32 a140, 0                                // 00000000354C: D3D9408C 18000080
	v_accvgpr_write_b32 a141, 0                                // 000000003554: D3D9408D 18000080
	v_accvgpr_write_b32 a142, 0                                // 00000000355C: D3D9408E 18000080
	v_accvgpr_write_b32 a143, 0                                // 000000003564: D3D9408F 18000080
	v_accvgpr_write_b32 a144, 0                                // 00000000356C: D3D94090 18000080
	v_accvgpr_write_b32 a145, 0                                // 000000003574: D3D94091 18000080
	v_accvgpr_write_b32 a146, 0                                // 00000000357C: D3D94092 18000080
	v_accvgpr_write_b32 a147, 0                                // 000000003584: D3D94093 18000080
	v_accvgpr_write_b32 a148, 0                                // 00000000358C: D3D94094 18000080
	v_accvgpr_write_b32 a149, 0                                // 000000003594: D3D94095 18000080
	v_accvgpr_write_b32 a150, 0                                // 00000000359C: D3D94096 18000080
	v_accvgpr_write_b32 a151, 0                                // 0000000035A4: D3D94097 18000080
	v_accvgpr_write_b32 a152, 0                                // 0000000035AC: D3D94098 18000080
	v_accvgpr_write_b32 a153, 0                                // 0000000035B4: D3D94099 18000080
	v_accvgpr_write_b32 a154, 0                                // 0000000035BC: D3D9409A 18000080
	v_accvgpr_write_b32 a155, 0                                // 0000000035C4: D3D9409B 18000080
	v_accvgpr_write_b32 a156, 0                                // 0000000035CC: D3D9409C 18000080
	v_accvgpr_write_b32 a157, 0                                // 0000000035D4: D3D9409D 18000080
	v_accvgpr_write_b32 a158, 0                                // 0000000035DC: D3D9409E 18000080
	v_accvgpr_write_b32 a159, 0                                // 0000000035E4: D3D9409F 18000080
	v_accvgpr_write_b32 a160, 0                                // 0000000035EC: D3D940A0 18000080
	v_accvgpr_write_b32 a161, 0                                // 0000000035F4: D3D940A1 18000080
	v_accvgpr_write_b32 a162, 0                                // 0000000035FC: D3D940A2 18000080
	v_accvgpr_write_b32 a163, 0                                // 000000003604: D3D940A3 18000080
	v_accvgpr_write_b32 a164, 0                                // 00000000360C: D3D940A4 18000080
	v_accvgpr_write_b32 a165, 0                                // 000000003614: D3D940A5 18000080
	v_accvgpr_write_b32 a166, 0                                // 00000000361C: D3D940A6 18000080
	v_accvgpr_write_b32 a167, 0                                // 000000003624: D3D940A7 18000080
	v_accvgpr_write_b32 a168, 0                                // 00000000362C: D3D940A8 18000080
	v_accvgpr_write_b32 a169, 0                                // 000000003634: D3D940A9 18000080
	v_accvgpr_write_b32 a170, 0                                // 00000000363C: D3D940AA 18000080
	v_accvgpr_write_b32 a171, 0                                // 000000003644: D3D940AB 18000080
	v_accvgpr_write_b32 a172, 0                                // 00000000364C: D3D940AC 18000080
	v_accvgpr_write_b32 a173, 0                                // 000000003654: D3D940AD 18000080
	v_accvgpr_write_b32 a174, 0                                // 00000000365C: D3D940AE 18000080
	v_accvgpr_write_b32 a175, 0                                // 000000003664: D3D940AF 18000080
	v_accvgpr_write_b32 a176, 0                                // 00000000366C: D3D940B0 18000080
	v_accvgpr_write_b32 a177, 0                                // 000000003674: D3D940B1 18000080
	v_accvgpr_write_b32 a178, 0                                // 00000000367C: D3D940B2 18000080
	v_accvgpr_write_b32 a179, 0                                // 000000003684: D3D940B3 18000080
	v_accvgpr_write_b32 a180, 0                                // 00000000368C: D3D940B4 18000080
	v_accvgpr_write_b32 a181, 0                                // 000000003694: D3D940B5 18000080
	v_accvgpr_write_b32 a182, 0                                // 00000000369C: D3D940B6 18000080
	v_accvgpr_write_b32 a183, 0                                // 0000000036A4: D3D940B7 18000080
	v_accvgpr_write_b32 a184, 0                                // 0000000036AC: D3D940B8 18000080
	v_accvgpr_write_b32 a185, 0                                // 0000000036B4: D3D940B9 18000080
	v_accvgpr_write_b32 a186, 0                                // 0000000036BC: D3D940BA 18000080
	v_accvgpr_write_b32 a187, 0                                // 0000000036C4: D3D940BB 18000080
	v_accvgpr_write_b32 a188, 0                                // 0000000036CC: D3D940BC 18000080
	v_accvgpr_write_b32 a189, 0                                // 0000000036D4: D3D940BD 18000080
	v_accvgpr_write_b32 a190, 0                                // 0000000036DC: D3D940BE 18000080
	v_accvgpr_write_b32 a191, 0                                // 0000000036E4: D3D940BF 18000080
	v_accvgpr_write_b32 a192, 0                                // 0000000036EC: D3D940C0 18000080
	v_accvgpr_write_b32 a193, 0                                // 0000000036F4: D3D940C1 18000080
	v_accvgpr_write_b32 a194, 0                                // 0000000036FC: D3D940C2 18000080
	v_accvgpr_write_b32 a195, 0                                // 000000003704: D3D940C3 18000080
	v_accvgpr_write_b32 a196, 0                                // 00000000370C: D3D940C4 18000080
	v_accvgpr_write_b32 a197, 0                                // 000000003714: D3D940C5 18000080
	v_accvgpr_write_b32 a198, 0                                // 00000000371C: D3D940C6 18000080
	v_accvgpr_write_b32 a199, 0                                // 000000003724: D3D940C7 18000080
	v_accvgpr_write_b32 a200, 0                                // 00000000372C: D3D940C8 18000080
	v_accvgpr_write_b32 a201, 0                                // 000000003734: D3D940C9 18000080
	v_accvgpr_write_b32 a202, 0                                // 00000000373C: D3D940CA 18000080
	v_accvgpr_write_b32 a203, 0                                // 000000003744: D3D940CB 18000080
	v_accvgpr_write_b32 a204, 0                                // 00000000374C: D3D940CC 18000080
	v_accvgpr_write_b32 a205, 0                                // 000000003754: D3D940CD 18000080
	v_accvgpr_write_b32 a206, 0                                // 00000000375C: D3D940CE 18000080
	v_accvgpr_write_b32 a207, 0                                // 000000003764: D3D940CF 18000080
	v_accvgpr_write_b32 a208, 0                                // 00000000376C: D3D940D0 18000080
	v_accvgpr_write_b32 a209, 0                                // 000000003774: D3D940D1 18000080
	v_accvgpr_write_b32 a210, 0                                // 00000000377C: D3D940D2 18000080
	v_accvgpr_write_b32 a211, 0                                // 000000003784: D3D940D3 18000080
	v_accvgpr_write_b32 a212, 0                                // 00000000378C: D3D940D4 18000080
	v_accvgpr_write_b32 a213, 0                                // 000000003794: D3D940D5 18000080
	v_accvgpr_write_b32 a214, 0                                // 00000000379C: D3D940D6 18000080
	v_accvgpr_write_b32 a215, 0                                // 0000000037A4: D3D940D7 18000080
	v_accvgpr_write_b32 a216, 0                                // 0000000037AC: D3D940D8 18000080
	v_accvgpr_write_b32 a217, 0                                // 0000000037B4: D3D940D9 18000080
	v_accvgpr_write_b32 a218, 0                                // 0000000037BC: D3D940DA 18000080
	v_accvgpr_write_b32 a219, 0                                // 0000000037C4: D3D940DB 18000080
	v_accvgpr_write_b32 a220, 0                                // 0000000037CC: D3D940DC 18000080
	v_accvgpr_write_b32 a221, 0                                // 0000000037D4: D3D940DD 18000080
	v_accvgpr_write_b32 a222, 0                                // 0000000037DC: D3D940DE 18000080
	v_accvgpr_write_b32 a223, 0                                // 0000000037E4: D3D940DF 18000080
	v_accvgpr_write_b32 a224, 0                                // 0000000037EC: D3D940E0 18000080
	v_accvgpr_write_b32 a225, 0                                // 0000000037F4: D3D940E1 18000080
	v_accvgpr_write_b32 a226, 0                                // 0000000037FC: D3D940E2 18000080
	v_accvgpr_write_b32 a227, 0                                // 000000003804: D3D940E3 18000080
	v_accvgpr_write_b32 a228, 0                                // 00000000380C: D3D940E4 18000080
	v_accvgpr_write_b32 a229, 0                                // 000000003814: D3D940E5 18000080
	v_accvgpr_write_b32 a230, 0                                // 00000000381C: D3D940E6 18000080
	v_accvgpr_write_b32 a231, 0                                // 000000003824: D3D940E7 18000080
	v_accvgpr_write_b32 a232, 0                                // 00000000382C: D3D940E8 18000080
	v_accvgpr_write_b32 a233, 0                                // 000000003834: D3D940E9 18000080
	v_accvgpr_write_b32 a234, 0                                // 00000000383C: D3D940EA 18000080
	v_accvgpr_write_b32 a235, 0                                // 000000003844: D3D940EB 18000080
	v_accvgpr_write_b32 a236, 0                                // 00000000384C: D3D940EC 18000080
	v_accvgpr_write_b32 a237, 0                                // 000000003854: D3D940ED 18000080
	v_accvgpr_write_b32 a238, 0                                // 00000000385C: D3D940EE 18000080
	v_accvgpr_write_b32 a239, 0                                // 000000003864: D3D940EF 18000080
	v_accvgpr_write_b32 a240, 0                                // 00000000386C: D3D940F0 18000080
	v_accvgpr_write_b32 a241, 0                                // 000000003874: D3D940F1 18000080
	v_accvgpr_write_b32 a242, 0                                // 00000000387C: D3D940F2 18000080
	v_accvgpr_write_b32 a243, 0                                // 000000003884: D3D940F3 18000080
	v_accvgpr_write_b32 a244, 0                                // 00000000388C: D3D940F4 18000080
	v_accvgpr_write_b32 a245, 0                                // 000000003894: D3D940F5 18000080
	v_accvgpr_write_b32 a246, 0                                // 00000000389C: D3D940F6 18000080
	v_accvgpr_write_b32 a247, 0                                // 0000000038A4: D3D940F7 18000080
	v_accvgpr_write_b32 a248, 0                                // 0000000038AC: D3D940F8 18000080
	v_accvgpr_write_b32 a249, 0                                // 0000000038B4: D3D940F9 18000080
	v_accvgpr_write_b32 a250, 0                                // 0000000038BC: D3D940FA 18000080
	v_accvgpr_write_b32 a251, 0                                // 0000000038C4: D3D940FB 18000080
	v_accvgpr_write_b32 a252, 0                                // 0000000038CC: D3D940FC 18000080
	v_accvgpr_write_b32 a253, 0                                // 0000000038D4: D3D940FD 18000080
	v_accvgpr_write_b32 a254, 0                                // 0000000038DC: D3D940FE 18000080
	v_accvgpr_write_b32 a255, 0                                // 0000000038E4: D3D940FF 18000080
	s_waitcnt vmcnt(15)                                        // 0000000038EC: BF8C0F7F
	s_barrier                                                  // 0000000038F0: BF8A0000
	ds_read_b128 v[8:11], v214                                 // 0000000038F4: D9FE0000 080000D6
	ds_read_b128 v[16:19], v214 offset:64                      // 0000000038FC: D9FE0040 100000D6
	ds_read_b128 v[12:15], v214 offset:512                     // 000000003904: D9FE0200 0C0000D6
	ds_read_b128 v[20:23], v214 offset:576                     // 00000000390C: D9FE0240 140000D6
	ds_read_b32 v200, v217                                     // 000000003914: D86C0000 C80000D9
	ds_read_b128 v[24:27], v214 offset:4224                    // 00000000391C: D9FE1080 180000D6
	ds_read_b128 v[32:35], v214 offset:4288                    // 000000003924: D9FE10C0 200000D6
	ds_read_b128 v[28:31], v214 offset:4736                    // 00000000392C: D9FE1280 1C0000D6
	ds_read_b128 v[36:39], v214 offset:4800                    // 000000003934: D9FE12C0 240000D6
	ds_read_b32 v201, v217 offset:256                          // 00000000393C: D86C0100 C90000D9
	s_nop 0                                                    // 000000003944: BF800000
	s_nop 0                                                    // 000000003948: BF800000
	s_nop 0                                                    // 00000000394C: BF800000
	s_nop 0                                                    // 000000003950: BF800000
	s_nop 0                                                    // 000000003954: BF800000
	s_lshl_b32 s36, s36, 1                                     // 000000003958: 8E248124
	s_mul_i32 s62, s48, 64                                     // 00000000395C: 923EC030
	s_mul_hi_u32 s63, s36, s62                                 // 000000003960: 963F3E24
	s_add_u32 s5, s5, s63                                      // 000000003964: 80053F05
	s_mul_i32 s63, s36, s62                                    // 000000003968: 923F3E24
	s_add_u32 s4, s4, s63                                      // 00000000396C: 80043F04
	s_addc_u32 s5, s5, 0                                       // 000000003970: 82058005
	s_mul_i32 s63, s47, 0x400                                  // 000000003974: 923FFF2F 00000400
	s_lshl_b32 s63, s63, 1                                     // 00000000397C: 8E3F813F
	s_add_u32 s4, s4, s63                                      // 000000003980: 80043F04
	s_addc_u32 s5, s5, 0                                       // 000000003984: 82058005
	s_sub_i32 s62, s43, s62                                    // 000000003988: 81BE3E2B
	s_cmp_lt_u32 s62, 64                                       // 00000000398C: BF0AC03E
	s_cselect_b32 s62, s62, 64                                 // 000000003990: 853EC03E
	s_mul_i32 s62, s36, s62                                    // 000000003994: 923E3E24
	s_sub_i32 s6, s62, s63                                     // 000000003998: 81863F3E
	s_mov_b32 s7, 0x20000                                      // 00000000399C: BE8700FF 00020000
	s_mul_i32 s62, s46, 0x100                                  // 0000000039A4: 923EFF2E 00000100
	s_lshl_b32 s62, s62, 1                                     // 0000000039AC: 8E3E813E
	v_lshrrev_b32_e32 v4, 5, v0                                // 0000000039B0: 20080085
	v_mul_i32_i24_e32 v4, 16, v4                               // 0000000039B4: 0C080890
	v_lshrrev_b32_e32 v5, 4, v0                                // 0000000039B8: 200A0084
	v_and_b32_e32 v5, 1, v5                                    // 0000000039BC: 260A0A81
	v_mul_i32_i24_e32 v5, 32, v5                               // 0000000039C0: 0C0A0AA0
	v_add_u32_e32 v4, v4, v5                                   // 0000000039C4: 68080B04
	v_and_b32_e32 v5, 15, v0                                   // 0000000039C8: 260A008F
	v_mul_lo_u32 v242, s36, v5                                 // 0000000039CC: D28500F2 00020A24
	v_add_u32_e32 v242, s62, v242                              // 0000000039D4: 69E5E43E
	v_add_u32_e32 v242, v4, v242                               // 0000000039D8: 69E5E504
	s_cmp_lt_i32 s46, 2                                        // 0000000039DC: BF04822E
	s_cbranch_scc0 label_089E                                  // 0000000039E0: BF840525

00000000000039e4 <label_0379>:
	s_waitcnt vmcnt(10) lgkmcnt(5)                             // 0000000039E4: BF8C057A
	v_mfma_scale_f32_16x16x128_f8f6f4 a[0:3], v[72:75], v[8:11], a[0:3], v204, v200 op_sel_hi:[0,0,0] cbsz:4 blgp:4// 0000000039E8: D3AC6000 000391CC D3AD8C00 84021148
	v_mfma_scale_f32_16x16x128_f8f6f4 a[4:7], v[72:75], v[12:15], a[4:7], v204, v200 op_sel_hi:[0,0,0] cbsz:4 blgp:4// 0000000039F8: D3AC7000 000391CC D3AD8C04 84121948
	buffer_load_dwordx4 v[120:123], v224, s[16:19], 0 offen    // 000000003A08: E05C1000 800478E0
	v_mfma_scale_f32_16x16x128_f8f6f4 a[8:11], v[76:79], v[8:11], a[8:11], v204, v200 op_sel_hi:[0,0,0] cbsz:4 blgp:4// 000000003A10: D3AC6800 000391CC D3AD8C08 8422114C
	v_mfma_scale_f32_16x16x128_f8f6f4 a[12:15], v[76:79], v[12:15], a[12:15], v204, v200 op_sel_hi:[0,0,0] cbsz:4 blgp:4// 000000003A20: D3AC1800 000391CC D3AD8C0C 8432194C
	buffer_load_dwordx4 v[124:127], v225, s[16:19], 0 offen    // 000000003A30: E05C1000 80047CE1
	v_mfma_scale_f32_16x16x128_f8f6f4 a[0:3], v[80:83], v[16:19], a[0:3], v204, v200 op_sel_hi:[0,0,0] cbsz:4 blgp:4// 000000003A38: D3AC0000 180391CC D3AD8C00 84022150
	v_mfma_scale_f32_16x16x128_f8f6f4 a[4:7], v[80:83], v[20:23], a[4:7], v204, v200 op_sel_hi:[0,0,0] cbsz:4 blgp:4// 000000003A48: D3AC7000 180391CC D3AD8C04 84122950
	buffer_load_dwordx4 v[128:131], v224, s[16:19], 0 offen offset:1024// 000000003A58: E05C1400 800480E0
	v_mfma_scale_f32_16x16x128_f8f6f4 a[8:11], v[84:87], v[16:19], a[8:11], v204, v200 op_sel_hi:[0,0,0] cbsz:4 blgp:4// 000000003A60: D3AC6800 180391CC D3AD8C08 84222154
	v_mfma_scale_f32_16x16x128_f8f6f4 a[12:15], v[84:87], v[20:23], a[12:15], v204, v200 op_sel_hi:[0,0,0] cbsz:4 blgp:4// 000000003A70: D3AC7800 180391CC D3AD8C0C 84322954
	buffer_load_dwordx4 v[132:135], v225, s[16:19], 0 offen offset:1024// 000000003A80: E05C1400 800484E1
	s_waitcnt lgkmcnt(0)                                       // 000000003A88: BF8CC07F
	v_mfma_scale_f32_16x16x128_f8f6f4 a[128:131], v[72:75], v[24:27], a[128:131], v204, v201 op_sel_hi:[0,0,0] cbsz:4 blgp:4// 000000003A8C: D3AC6000 000393CC D3AD8C80 86023148
	v_mfma_scale_f32_16x16x128_f8f6f4 a[132:135], v[72:75], v[28:31], a[132:135], v204, v201 op_sel_hi:[0,0,0] cbsz:4 blgp:4// 000000003A9C: D3AC7000 000393CC D3AD8C84 86123948
	buffer_load_dword v207, v237, s[24:27], 0 offen            // 000000003AAC: E0501000 8006CFED
	v_mfma_scale_f32_16x16x128_f8f6f4 a[136:139], v[76:79], v[24:27], a[136:139], v204, v201 op_sel_hi:[0,0,0] cbsz:4 blgp:4// 000000003AB4: D3AC6800 000393CC D3AD8C88 8622314C
	v_mfma_scale_f32_16x16x128_f8f6f4 a[140:143], v[76:79], v[28:31], a[140:143], v204, v201 op_sel_hi:[0,0,0] cbsz:4 blgp:4// 000000003AC4: D3AC7800 000393CC D3AD8C8C 8632394C
	v_mfma_scale_f32_16x16x128_f8f6f4 a[128:131], v[80:83], v[32:35], a[128:131], v204, v201 op_sel_hi:[0,0,0] cbsz:4 blgp:4// 000000003AD4: D3AC6000 180393CC D3AD8C80 86024150
	v_mfma_scale_f32_16x16x128_f8f6f4 a[132:135], v[80:83], v[36:39], a[132:135], v204, v201 op_sel_hi:[0,0,0] cbsz:4 blgp:4// 000000003AE4: D3AC7000 180393CC D3AD8C84 86124950
	v_mfma_scale_f32_16x16x128_f8f6f4 a[136:139], v[84:87], v[32:35], a[136:139], v204, v201 op_sel_hi:[0,0,0] cbsz:4 blgp:4// 000000003AF4: D3AC6800 180393CC D3AD8C88 86224154
	v_mfma_scale_f32_16x16x128_f8f6f4 a[140:143], v[84:87], v[36:39], a[140:143], v204, v201 op_sel_hi:[0,0,0] cbsz:4 blgp:4// 000000003B04: D3AC7800 180393CC D3AD8C8C 86324954
	s_waitcnt vmcnt(10)                                        // 000000003B14: BF8C0F7A
	v_mfma_scale_f32_16x16x128_f8f6f4 a[16:19], v[88:91], v[8:11], a[16:19], v205, v200 op_sel_hi:[0,0,0] cbsz:4 blgp:4// 000000003B18: D3AC6000 000391CD D3AD8C10 84421158
	v_mfma_scale_f32_16x16x128_f8f6f4 a[20:23], v[88:91], v[12:15], a[20:23], v205, v200 op_sel_hi:[0,0,0] cbsz:4 blgp:4// 000000003B28: D3AC7000 000391CD D3AD8C14 84521958
	buffer_load_dwordx4 v[136:139], v226, s[16:19], 0 offen    // 000000003B38: E05C1000 800488E2
	v_mfma_scale_f32_16x16x128_f8f6f4 a[24:27], v[92:95], v[8:11], a[24:27], v205, v200 op_sel_hi:[0,0,0] cbsz:4 blgp:4// 000000003B40: D3AC6800 000391CD D3AD8C18 8462115C
	v_mfma_scale_f32_16x16x128_f8f6f4 a[28:31], v[92:95], v[12:15], a[28:31], v205, v200 op_sel_hi:[0,0,0] cbsz:4 blgp:4// 000000003B50: D3AC7800 000391CD D3AD8C1C 8472195C
	buffer_load_dwordx4 v[140:143], v227, s[16:19], 0 offen    // 000000003B60: E05C1000 80048CE3
	v_mfma_scale_f32_16x16x128_f8f6f4 a[16:19], v[96:99], v[16:19], a[16:19], v205, v200 op_sel_hi:[0,0,0] cbsz:4 blgp:4// 000000003B68: D3AC6000 180391CD D3AD8C10 84422160
	v_mfma_scale_f32_16x16x128_f8f6f4 a[20:23], v[96:99], v[20:23], a[20:23], v205, v200 op_sel_hi:[0,0,0] cbsz:4 blgp:4// 000000003B78: D3AC7000 180391CD D3AD8C14 84522960
	buffer_load_dwordx4 v[144:147], v226, s[16:19], 0 offen offset:1024// 000000003B88: E05C1400 800490E2
	v_mfma_scale_f32_16x16x128_f8f6f4 a[24:27], v[100:103], v[16:19], a[24:27], v205, v200 op_sel_hi:[0,0,0] cbsz:4 blgp:4// 000000003B90: D3AC6800 180391CD D3AD8C18 84622164
	v_mfma_scale_f32_16x16x128_f8f6f4 a[28:31], v[100:103], v[20:23], a[28:31], v205, v200 op_sel_hi:[0,0,0] cbsz:4 blgp:4// 000000003BA0: D3AC5800 180391CD D3AD8C1C 84722964
	buffer_load_dwordx4 v[148:151], v227, s[16:19], 0 offen offset:1024// 000000003BB0: E05C1400 800494E3
	v_mfma_scale_f32_16x16x128_f8f6f4 a[144:147], v[88:91], v[24:27], a[144:147], v205, v201 op_sel_hi:[0,0,0] cbsz:4 blgp:4// 000000003BB8: D3AC6000 000393CD D3AD8C90 86423158
	v_mfma_scale_f32_16x16x128_f8f6f4 a[148:151], v[88:91], v[28:31], a[148:151], v205, v201 op_sel_hi:[0,0,0] cbsz:4 blgp:4// 000000003BC8: D3AC7000 000393CD D3AD8C94 86523958
	buffer_load_dword v208, v238, s[24:27], 0 offen            // 000000003BD8: E0501000 8006D0EE
	v_mfma_scale_f32_16x16x128_f8f6f4 a[152:155], v[92:95], v[24:27], a[152:155], v205, v201 op_sel_hi:[0,0,0] cbsz:4 blgp:4// 000000003BE0: D3AC6800 000393CD D3AD8C98 8662315C
	v_mfma_scale_f32_16x16x128_f8f6f4 a[156:159], v[92:95], v[28:31], a[156:159], v205, v201 op_sel_hi:[0,0,0] cbsz:4 blgp:4// 000000003BF0: D3AC7800 000393CD D3AD8C9C 8672395C
	v_mfma_scale_f32_16x16x128_f8f6f4 a[144:147], v[96:99], v[32:35], a[144:147], v205, v201 op_sel_hi:[0,0,0] cbsz:4 blgp:4// 000000003C00: D3AC6000 180393CD D3AD8C90 86424160
	v_mfma_scale_f32_16x16x128_f8f6f4 a[148:151], v[96:99], v[36:39], a[148:151], v205, v201 op_sel_hi:[0,0,0] cbsz:4 blgp:4// 000000003C10: D3AC7000 180393CD D3AD8C94 86524960
	v_mfma_scale_f32_16x16x128_f8f6f4 a[152:155], v[100:103], v[32:35], a[152:155], v205, v201 op_sel_hi:[0,0,0] cbsz:4 blgp:4// 000000003C20: D3AC6800 180393CD D3AD8C98 86624164
	v_mfma_scale_f32_16x16x128_f8f6f4 a[156:159], v[100:103], v[36:39], a[156:159], v205, v201 op_sel_hi:[0,0,0] cbsz:4 blgp:4// 000000003C30: D3AC7800 180393CD D3AD8C9C 86724964
	s_waitcnt vmcnt(10)                                        // 000000003C40: BF8C0F7A
	v_mfma_scale_f32_16x16x128_f8f6f4 a[32:35], v[104:107], v[8:11], a[32:35], v206, v200 op_sel_hi:[0,0,0] cbsz:4 blgp:4// 000000003C44: D3AC6000 000391CE D3AD8C20 84821168
	v_mfma_scale_f32_16x16x128_f8f6f4 a[36:39], v[104:107], v[12:15], a[36:39], v206, v200 op_sel_hi:[0,0,0] cbsz:4 blgp:4// 000000003C54: D3AC7000 000391CE D3AD8C24 84921968
	buffer_load_dwordx4 v[152:155], v228, s[16:19], 0 offen    // 000000003C64: E05C1000 800498E4
	v_mfma_scale_f32_16x16x128_f8f6f4 a[40:43], v[108:111], v[8:11], a[40:43], v206, v200 op_sel_hi:[0,0,0] cbsz:4 blgp:4// 000000003C6C: D3AC6800 000391CE D3AD8C28 84A2116C
	v_mfma_scale_f32_16x16x128_f8f6f4 a[44:47], v[108:111], v[12:15], a[44:47], v206, v200 op_sel_hi:[0,0,0] cbsz:4 blgp:4// 000000003C7C: D3AC5800 000391CE D3AD8C2C 84B2196C
	buffer_load_dwordx4 v[156:159], v229, s[16:19], 0 offen    // 000000003C8C: E05C1000 80049CE5
	v_mfma_scale_f32_16x16x128_f8f6f4 a[32:35], v[112:115], v[16:19], a[32:35], v206, v200 op_sel_hi:[0,0,0] cbsz:4 blgp:4// 000000003C94: D3AC6000 180391CE D3AD8C20 84822170
	v_mfma_scale_f32_16x16x128_f8f6f4 a[36:39], v[112:115], v[20:23], a[36:39], v206, v200 op_sel_hi:[0,0,0] cbsz:4 blgp:4// 000000003CA4: D3AC7000 180391CE D3AD8C24 84922970
	buffer_load_dwordx4 v[160:163], v228, s[16:19], 0 offen offset:1024// 000000003CB4: E05C1400 8004A0E4
	v_mfma_scale_f32_16x16x128_f8f6f4 a[40:43], v[116:119], v[16:19], a[40:43], v206, v200 op_sel_hi:[0,0,0] cbsz:4 blgp:4// 000000003CBC: D3AC6800 180391CE D3AD8C28 84A22174
	v_mfma_scale_f32_16x16x128_f8f6f4 a[44:47], v[116:119], v[20:23], a[44:47], v206, v200 op_sel_hi:[0,0,0] cbsz:4 blgp:4// 000000003CCC: D3AC7800 180391CE D3AD8C2C 84B22974
	buffer_load_dwordx4 v[164:167], v229, s[16:19], 0 offen offset:1024// 000000003CDC: E05C1400 8004A4E5
	v_mfma_scale_f32_16x16x128_f8f6f4 a[160:163], v[104:107], v[24:27], a[160:163], v206, v201 op_sel_hi:[0,0,0] cbsz:4 blgp:4// 000000003CE4: D3AC6000 000393CE D3AD8CA0 86823168
	v_mfma_scale_f32_16x16x128_f8f6f4 a[164:167], v[104:107], v[28:31], a[164:167], v206, v201 op_sel_hi:[0,0,0] cbsz:4 blgp:4// 000000003CF4: D3AC7000 000393CE D3AD8CA4 86923968
	buffer_load_dword v209, v239, s[24:27], 0 offen            // 000000003D04: E0501000 8006D1EF
	v_mfma_scale_f32_16x16x128_f8f6f4 a[168:171], v[108:111], v[24:27], a[168:171], v206, v201 op_sel_hi:[0,0,0] cbsz:4 blgp:4// 000000003D0C: D3AC6800 000393CE D3AD8CA8 86A2316C
	v_mfma_scale_f32_16x16x128_f8f6f4 a[172:175], v[108:111], v[28:31], a[172:175], v206, v201 op_sel_hi:[0,0,0] cbsz:4 blgp:4// 000000003D1C: D3AC7800 000393CE D3AD8CAC 86B2396C
	v_mfma_scale_f32_16x16x128_f8f6f4 a[160:163], v[112:115], v[32:35], a[160:163], v206, v201 op_sel_hi:[0,0,0] cbsz:4 blgp:4// 000000003D2C: D3AC6000 180393CE D3AD8CA0 86824170
	v_mfma_scale_f32_16x16x128_f8f6f4 a[164:167], v[112:115], v[36:39], a[164:167], v206, v201 op_sel_hi:[0,0,0] cbsz:4 blgp:4// 000000003D3C: D3AC7000 180393CE D3AD8CA4 86924970
	v_mfma_scale_f32_16x16x128_f8f6f4 a[168:171], v[116:119], v[32:35], a[168:171], v206, v201 op_sel_hi:[0,0,0] cbsz:4 blgp:4// 000000003D4C: D3AC6800 180393CE D3AD8CA8 86A24174
	v_mfma_scale_f32_16x16x128_f8f6f4 a[172:175], v[116:119], v[36:39], a[172:175], v206, v201 op_sel_hi:[0,0,0] cbsz:4 blgp:4// 000000003D5C: D3AC7800 180393CE D3AD8CAC 86B24974
	s_waitcnt vmcnt(10)                                        // 000000003D6C: BF8C0F7A
	v_mfma_scale_f32_16x16x128_f8f6f4 a[48:51], v[120:123], v[8:11], a[48:51], v207, v200 op_sel_hi:[0,0,0] cbsz:4 blgp:4// 000000003D70: D3AC6000 000391CF D3AD8C30 84C21178
	v_mfma_scale_f32_16x16x128_f8f6f4 a[52:55], v[120:123], v[12:15], a[52:55], v207, v200 op_sel_hi:[0,0,0] cbsz:4 blgp:4// 000000003D80: D3AC7000 000391CF D3AD8C34 84D21978
	buffer_load_dwordx4 v[168:171], v230, s[16:19], 0 offen    // 000000003D90: E05C1000 8004A8E6
	v_mfma_scale_f32_16x16x128_f8f6f4 a[56:59], v[124:127], v[8:11], a[56:59], v207, v200 op_sel_hi:[0,0,0] cbsz:4 blgp:4// 000000003D98: D3AC6800 000391CF D3AD8C38 84E2117C
	v_mfma_scale_f32_16x16x128_f8f6f4 a[60:63], v[124:127], v[12:15], a[60:63], v207, v200 op_sel_hi:[0,0,0] cbsz:4 blgp:4// 000000003DA8: D3AC7800 000391CF D3AD8C3C 84F2197C
	buffer_load_dwordx4 v[172:175], v231, s[16:19], 0 offen    // 000000003DB8: E05C1000 8004ACE7
	v_mfma_scale_f32_16x16x128_f8f6f4 a[48:51], v[128:131], v[16:19], a[48:51], v207, v200 op_sel_hi:[0,0,0] cbsz:4 blgp:4// 000000003DC0: D3AC6000 180391CF D3AD8C30 84C22180
	v_mfma_scale_f32_16x16x128_f8f6f4 a[52:55], v[128:131], v[20:23], a[52:55], v207, v200 op_sel_hi:[0,0,0] cbsz:4 blgp:4// 000000003DD0: D3AC7000 180391CF D3AD8C34 84D22980
	buffer_load_dwordx4 v[176:179], v230, s[16:19], 0 offen offset:1024// 000000003DE0: E05C1400 8004B0E6
	v_mfma_scale_f32_16x16x128_f8f6f4 a[56:59], v[132:135], v[16:19], a[56:59], v207, v200 op_sel_hi:[0,0,0] cbsz:4 blgp:4// 000000003DE8: D3AC6800 180391CF D3AD8C38 84E22184
	v_mfma_scale_f32_16x16x128_f8f6f4 a[60:63], v[132:135], v[20:23], a[60:63], v207, v200 op_sel_hi:[0,0,0] cbsz:4 blgp:4// 000000003DF8: D3AC3800 180391CF D3AD8C3C 84F22984
	buffer_load_dwordx4 v[180:183], v231, s[16:19], 0 offen offset:1024// 000000003E08: E05C1400 8004B4E7
	v_mfma_scale_f32_16x16x128_f8f6f4 a[176:179], v[120:123], v[24:27], a[176:179], v207, v201 op_sel_hi:[0,0,0] cbsz:4 blgp:4// 000000003E10: D3AC6000 000393CF D3AD8CB0 86C23178
	v_mfma_scale_f32_16x16x128_f8f6f4 a[180:183], v[120:123], v[28:31], a[180:183], v207, v201 op_sel_hi:[0,0,0] cbsz:4 blgp:4// 000000003E20: D3AC7000 000393CF D3AD8CB4 86D23978
	buffer_load_dword v210, v240, s[24:27], 0 offen            // 000000003E30: E0501000 8006D2F0
	v_mfma_scale_f32_16x16x128_f8f6f4 a[184:187], v[124:127], v[24:27], a[184:187], v207, v201 op_sel_hi:[0,0,0] cbsz:4 blgp:4// 000000003E38: D3AC6800 000393CF D3AD8CB8 86E2317C
	v_mfma_scale_f32_16x16x128_f8f6f4 a[188:191], v[124:127], v[28:31], a[188:191], v207, v201 op_sel_hi:[0,0,0] cbsz:4 blgp:4// 000000003E48: D3AC5800 000393CF D3AD8CBC 86F2397C
	v_mfma_scale_f32_16x16x128_f8f6f4 a[176:179], v[128:131], v[32:35], a[176:179], v207, v201 op_sel_hi:[0,0,0] cbsz:4 blgp:4// 000000003E58: D3AC4000 180393CF D3AD8CB0 86C24180
	v_mfma_scale_f32_16x16x128_f8f6f4 a[180:183], v[128:131], v[36:39], a[180:183], v207, v201 op_sel_hi:[0,0,0] cbsz:4 blgp:4// 000000003E68: D3AC5000 180393CF D3AD8CB4 86D24980
	v_mfma_scale_f32_16x16x128_f8f6f4 a[184:187], v[132:135], v[32:35], a[184:187], v207, v201 op_sel_hi:[0,0,0] cbsz:4 blgp:4// 000000003E78: D3AC2800 180393CF D3AD8CB8 86E24184
	v_mfma_scale_f32_16x16x128_f8f6f4 a[188:191], v[132:135], v[36:39], a[188:191], v207, v201 op_sel_hi:[0,0,0] cbsz:4 blgp:4// 000000003E88: D3AC7800 180393CF D3AD8CBC 86F24984
	s_waitcnt vmcnt(10)                                        // 000000003E98: BF8C0F7A
	v_mfma_scale_f32_16x16x128_f8f6f4 a[64:67], v[136:139], v[8:11], a[64:67], v208, v200 op_sel_hi:[0,0,0] cbsz:4 blgp:4// 000000003E9C: D3AC6000 000391D0 D3AD8C40 85021188
	s_add_u32 s63, 0x100, s60                                  // 000000003EAC: 803F3CFF 00000100
	s_cmp_lt_u32 s63, s61                                      // 000000003EB4: BF0A3D3F
	v_mfma_scale_f32_16x16x128_f8f6f4 a[68:71], v[136:139], v[12:15], a[68:71], v208, v200 op_sel_hi:[0,0,0] cbsz:4 blgp:4// 000000003EB8: D3AC7000 000391D0 D3AD8C44 85121988
	s_cselect_b32 s67, s67, 0                                  // 000000003EC8: 85438043
	buffer_load_dwordx4 v[184:187], v232, s[16:19], 0 offen    // 000000003ECC: E05C1000 8004B8E8
	v_mfma_scale_f32_16x16x128_f8f6f4 a[72:75], v[140:143], v[8:11], a[72:75], v208, v200 op_sel_hi:[0,0,0] cbsz:4 blgp:4// 000000003ED4: D3AC4800 000391D0 D3AD8C48 8522118C
	s_cselect_b32 s69, s69, 0                                  // 000000003EE4: 85458045
	v_mfma_scale_f32_16x16x128_f8f6f4 a[76:79], v[140:143], v[12:15], a[76:79], v208, v200 op_sel_hi:[0,0,0] cbsz:4 blgp:4// 000000003EE8: D3AC5800 000391D0 D3AD8C4C 8532198C
	buffer_load_dwordx4 v[188:191], v233, s[16:19], 0 offen    // 000000003EF8: E05C1000 8004BCE9
	v_mfma_scale_f32_16x16x128_f8f6f4 a[64:67], v[144:147], v[16:19], a[64:67], v208, v200 op_sel_hi:[0,0,0] cbsz:4 blgp:4// 000000003F00: D3AC6000 180391D0 D3AD8C40 85022190
	v_mfma_scale_f32_16x16x128_f8f6f4 a[68:71], v[144:147], v[20:23], a[68:71], v208, v200 op_sel_hi:[0,0,0] cbsz:4 blgp:4// 000000003F10: D3AC5000 180391D0 D3AD8C44 85122990
	buffer_load_dwordx4 v[192:195], v232, s[16:19], 0 offen offset:1024// 000000003F20: E05C1400 8004C0E8
	v_mfma_scale_f32_16x16x128_f8f6f4 a[72:75], v[148:151], v[16:19], a[72:75], v208, v200 op_sel_hi:[0,0,0] cbsz:4 blgp:4// 000000003F28: D3AC6800 180391D0 D3AD8C48 85222194
	v_mfma_scale_f32_16x16x128_f8f6f4 a[76:79], v[148:151], v[20:23], a[76:79], v208, v200 op_sel_hi:[0,0,0] cbsz:4 blgp:4// 000000003F38: D3AC5800 180391D0 D3AD8C4C 85322994
	buffer_load_dwordx4 v[196:199], v233, s[16:19], 0 offen offset:1024// 000000003F48: E05C1400 8004C4E9
	v_mfma_scale_f32_16x16x128_f8f6f4 a[192:195], v[136:139], v[24:27], a[192:195], v208, v201 op_sel_hi:[0,0,0] cbsz:4 blgp:4// 000000003F50: D3AC6000 000393D0 D3AD8CC0 87023188
	v_mfma_scale_f32_16x16x128_f8f6f4 a[196:199], v[136:139], v[28:31], a[196:199], v208, v201 op_sel_hi:[0,0,0] cbsz:4 blgp:4// 000000003F60: D3AC5000 000393D0 D3AD8CC4 87123988
	buffer_load_dword v211, v241, s[24:27], 0 offen            // 000000003F70: E0501000 8006D3F1
	v_mfma_scale_f32_16x16x128_f8f6f4 a[200:203], v[140:143], v[24:27], a[200:203], v208, v201 op_sel_hi:[0,0,0] cbsz:4 blgp:4// 000000003F78: D3AC6800 000393D0 D3AD8CC8 8722318C
	s_add_u32 s16, s16, s67                                    // 000000003F88: 80104310
	s_addc_u32 s17, 0, s17                                     // 000000003F8C: 82111180
	v_mfma_scale_f32_16x16x128_f8f6f4 a[204:207], v[140:143], v[28:31], a[204:207], v208, v201 op_sel_hi:[0,0,0] cbsz:4 blgp:4// 000000003F90: D3AC7800 000393D0 D3AD8CCC 8732398C
	s_sub_u32 s18, s18, s67                                    // 000000003FA0: 80924312
	s_add_u32 s24, s24, s69                                    // 000000003FA4: 80184518
	v_mfma_scale_f32_16x16x128_f8f6f4 a[192:195], v[144:147], v[32:35], a[192:195], v208, v201 op_sel_hi:[0,0,0] cbsz:4 blgp:4// 000000003FA8: D3AC6000 180393D0 D3AD8CC0 87024190
	s_addc_u32 s25, 0, s25                                     // 000000003FB8: 82191980
	s_sub_u32 s26, s26, s69                                    // 000000003FBC: 809A451A
	v_mfma_scale_f32_16x16x128_f8f6f4 a[196:199], v[144:147], v[36:39], a[196:199], v208, v201 op_sel_hi:[0,0,0] cbsz:4 blgp:4// 000000003FC0: D3AC7000 180393D0 D3AD8CC4 87124990
	s_add_u32 m0, 0x400, s65                                   // 000000003FD0: 807C41FF 00000400
	buffer_load_dword v216, s[20:23], 0 offen lds              // 000000003FD8: E0511000 800500D8
	v_mfma_scale_f32_16x16x128_f8f6f4 a[200:203], v[148:151], v[32:35], a[200:203], v208, v201 op_sel_hi:[0,0,0] cbsz:4 blgp:4// 000000003FE0: D3AC4800 180393D0 D3AD8CC8 87224194
	v_mfma_scale_f32_16x16x128_f8f6f4 a[204:207], v[148:151], v[36:39], a[204:207], v208, v201 op_sel_hi:[0,0,0] cbsz:4 blgp:4// 000000003FF0: D3AC5800 180393D0 D3AD8CCC 87324994
	s_waitcnt vmcnt(11)                                        // 000000004000: BF8C0F7B
	v_mfma_scale_f32_16x16x128_f8f6f4 a[80:83], v[152:155], v[8:11], a[80:83], v209, v200 op_sel_hi:[0,0,0] cbsz:4 blgp:4// 000000004004: D3AC6000 000391D1 D3AD8C50 85421198
	v_mfma_scale_f32_16x16x128_f8f6f4 a[84:87], v[152:155], v[12:15], a[84:87], v209, v200 op_sel_hi:[0,0,0] cbsz:4 blgp:4// 000000004014: D3AC5000 000391D1 D3AD8C54 85521998
	s_add_u32 m0, 0x2100, s64                                  // 000000004024: 807C40FF 00002100
	buffer_load_dwordx4 v212, s[12:15], 0 offen lds            // 00000000402C: E05D1000 800300D4
	v_mfma_scale_f32_16x16x128_f8f6f4 a[88:91], v[156:159], v[8:11], a[88:91], v209, v200 op_sel_hi:[0,0,0] cbsz:4 blgp:4// 000000004034: D3AC6800 000391D1 D3AD8C58 8562119C
	v_mfma_scale_f32_16x16x128_f8f6f4 a[92:95], v[156:159], v[12:15], a[92:95], v209, v200 op_sel_hi:[0,0,0] cbsz:4 blgp:4// 000000004044: D3AC5800 000391D1 D3AD8C5C 8572199C
	s_add_u32 m0, 0x3180, s64                                  // 000000004054: 807C40FF 00003180
	buffer_load_dwordx4 v213, s[12:15], 0 offen lds            // 00000000405C: E05D1000 800300D5
	v_mfma_scale_f32_16x16x128_f8f6f4 a[80:83], v[160:163], v[16:19], a[80:83], v209, v200 op_sel_hi:[0,0,0] cbsz:4 blgp:4// 000000004064: D3AC6000 180391D1 D3AD8C50 854221A0
	s_add_u32 s62, 0x200, s60                                  // 000000004074: 803E3CFF 00000200
	s_cmp_lt_u32 s62, s61                                      // 00000000407C: BF0A3D3E
	v_mfma_scale_f32_16x16x128_f8f6f4 a[84:87], v[160:163], v[20:23], a[84:87], v209, v200 op_sel_hi:[0,0,0] cbsz:4 blgp:4// 000000004080: D3AC7000 180391D1 D3AD8C54 855229A0
	s_cselect_b32 s66, s66, 0                                  // 000000004090: 85428042
	buffer_load_dwordx4 v[72:75], v218, s[16:19], 0 offen      // 000000004094: E05C1000 800448DA
	v_mfma_scale_f32_16x16x128_f8f6f4 a[88:91], v[164:167], v[16:19], a[88:91], v209, v200 op_sel_hi:[0,0,0] cbsz:4 blgp:4// 00000000409C: D3AC6800 180391D1 D3AD8C58 856221A4
	s_cselect_b32 s68, s68, 0                                  // 0000000040AC: 85448044
	s_add_u32 s12, s12, s66                                    // 0000000040B0: 800C420C
	v_mfma_scale_f32_16x16x128_f8f6f4 a[92:95], v[164:167], v[20:23], a[92:95], v209, v200 op_sel_hi:[0,0,0] cbsz:4 blgp:4// 0000000040B4: D3AC7800 180391D1 D3AD8C5C 857229A4
	s_addc_u32 s13, 0, s13                                     // 0000000040C4: 820D0D80
	buffer_load_dwordx4 v[76:79], v219, s[16:19], 0 offen      // 0000000040C8: E05C1000 80044CDB
	v_mfma_scale_f32_16x16x128_f8f6f4 a[208:211], v[152:155], v[24:27], a[208:211], v209, v201 op_sel_hi:[0,0,0] cbsz:4 blgp:4// 0000000040D0: D3AC6000 000393D1 D3AD8CD0 87423198
	s_sub_u32 s14, s14, s66                                    // 0000000040E0: 808E420E
	s_add_u32 s20, s20, s68                                    // 0000000040E4: 80144414
	v_mfma_scale_f32_16x16x128_f8f6f4 a[212:215], v[152:155], v[28:31], a[212:215], v209, v201 op_sel_hi:[0,0,0] cbsz:4 blgp:4// 0000000040E8: D3AC7000 000393D1 D3AD8CD4 87523998
	s_addc_u32 s21, 0, s21                                     // 0000000040F8: 82151580
	buffer_load_dwordx4 v[80:83], v218, s[16:19], 0 offen offset:1024// 0000000040FC: E05C1400 800450DA
	v_mfma_scale_f32_16x16x128_f8f6f4 a[216:219], v[156:159], v[24:27], a[216:219], v209, v201 op_sel_hi:[0,0,0] cbsz:4 blgp:4// 000000004104: D3AC6800 000393D1 D3AD8CD8 8762319C
	s_sub_u32 s22, s22, s68                                    // 000000004114: 80964416
	v_mfma_scale_f32_16x16x128_f8f6f4 a[220:223], v[156:159], v[28:31], a[220:223], v209, v201 op_sel_hi:[0,0,0] cbsz:4 blgp:4// 000000004118: D3AC7800 000393D1 D3AD8CDC 8772399C
	buffer_load_dwordx4 v[84:87], v219, s[16:19], 0 offen offset:1024// 000000004128: E05C1400 800454DB
	v_mfma_scale_f32_16x16x128_f8f6f4 a[208:211], v[160:163], v[32:35], a[208:211], v209, v201 op_sel_hi:[0,0,0] cbsz:4 blgp:4// 000000004130: D3AC6000 180393D1 D3AD8CD0 874241A0
	v_mfma_scale_f32_16x16x128_f8f6f4 a[212:215], v[160:163], v[36:39], a[212:215], v209, v201 op_sel_hi:[0,0,0] cbsz:4 blgp:4// 000000004140: D3AC7000 180393D1 D3AD8CD4 875249A0
	buffer_load_dword v204, v234, s[24:27], 0 offen            // 000000004150: E0501000 8006CCEA
	v_mfma_scale_f32_16x16x128_f8f6f4 a[216:219], v[164:167], v[32:35], a[216:219], v209, v201 op_sel_hi:[0,0,0] cbsz:4 blgp:4// 000000004158: D3AC6800 180393D1 D3AD8CD8 876241A4
	v_mfma_scale_f32_16x16x128_f8f6f4 a[220:223], v[164:167], v[36:39], a[220:223], v209, v201 op_sel_hi:[0,0,0] cbsz:4 blgp:4// 000000004168: D3AC3800 180393D1 D3AD8CDC 877249A4
	s_waitcnt vmcnt(13)                                        // 000000004178: BF8C0F7D
	v_mfma_scale_f32_16x16x128_f8f6f4 a[96:99], v[168:171], v[8:11], a[96:99], v210, v200 op_sel_hi:[0,0,0] cbsz:4 blgp:4// 00000000417C: D3AC6000 000391D2 D3AD8C60 858211A8
	v_mfma_scale_f32_16x16x128_f8f6f4 a[100:103], v[168:171], v[12:15], a[100:103], v210, v200 op_sel_hi:[0,0,0] cbsz:4 blgp:4// 00000000418C: D3AC7000 000391D2 D3AD8C64 859219A8
	buffer_load_dwordx4 v[88:91], v220, s[16:19], 0 offen      // 00000000419C: E05C1000 800458DC
	v_mfma_scale_f32_16x16x128_f8f6f4 a[104:107], v[172:175], v[8:11], a[104:107], v210, v200 op_sel_hi:[0,0,0] cbsz:4 blgp:4// 0000000041A4: D3AC2800 000391D2 D3AD8C68 85A211AC
	v_mfma_scale_f32_16x16x128_f8f6f4 a[108:111], v[172:175], v[12:15], a[108:111], v210, v200 op_sel_hi:[0,0,0] cbsz:4 blgp:4// 0000000041B4: D3AC7800 000391D2 D3AD8C6C 85B219AC
	buffer_load_dwordx4 v[92:95], v221, s[16:19], 0 offen      // 0000000041C4: E05C1000 80045CDD
	v_mfma_scale_f32_16x16x128_f8f6f4 a[96:99], v[176:179], v[16:19], a[96:99], v210, v200 op_sel_hi:[0,0,0] cbsz:4 blgp:4// 0000000041CC: D3AC6000 180391D2 D3AD8C60 858221B0
	v_mfma_scale_f32_16x16x128_f8f6f4 a[100:103], v[176:179], v[20:23], a[100:103], v210, v200 op_sel_hi:[0,0,0] cbsz:4 blgp:4// 0000000041DC: D3AC7000 180391D2 D3AD8C64 859229B0
	buffer_load_dwordx4 v[96:99], v220, s[16:19], 0 offen offset:1024// 0000000041EC: E05C1400 800460DC
	v_mfma_scale_f32_16x16x128_f8f6f4 a[104:107], v[180:183], v[16:19], a[104:107], v210, v200 op_sel_hi:[0,0,0] cbsz:4 blgp:4// 0000000041F4: D3AC6800 180391D2 D3AD8C68 85A221B4
	v_mfma_scale_f32_16x16x128_f8f6f4 a[108:111], v[180:183], v[20:23], a[108:111], v210, v200 op_sel_hi:[0,0,0] cbsz:4 blgp:4// 000000004204: D3AC7800 180391D2 D3AD8C6C 85B229B4
	buffer_load_dwordx4 v[100:103], v221, s[16:19], 0 offen offset:1024// 000000004214: E05C1400 800464DD
	v_mfma_scale_f32_16x16x128_f8f6f4 a[224:227], v[168:171], v[24:27], a[224:227], v210, v201 op_sel_hi:[0,0,0] cbsz:4 blgp:4// 00000000421C: D3AC6000 000393D2 D3AD8CE0 878231A8
	v_mfma_scale_f32_16x16x128_f8f6f4 a[228:231], v[168:171], v[28:31], a[228:231], v210, v201 op_sel_hi:[0,0,0] cbsz:4 blgp:4// 00000000422C: D3AC7000 000393D2 D3AD8CE4 879239A8
	buffer_load_dword v205, v235, s[24:27], 0 offen            // 00000000423C: E0501000 8006CDEB
	v_mfma_scale_f32_16x16x128_f8f6f4 a[232:235], v[172:175], v[24:27], a[232:235], v210, v201 op_sel_hi:[0,0,0] cbsz:4 blgp:4// 000000004244: D3AC6800 000393D2 D3AD8CE8 87A231AC
	v_mfma_scale_f32_16x16x128_f8f6f4 a[236:239], v[172:175], v[28:31], a[236:239], v210, v201 op_sel_hi:[0,0,0] cbsz:4 blgp:4// 000000004254: D3AC7800 000393D2 D3AD8CEC 87B239AC
	v_mfma_scale_f32_16x16x128_f8f6f4 a[224:227], v[176:179], v[32:35], a[224:227], v210, v201 op_sel_hi:[0,0,0] cbsz:4 blgp:4// 000000004264: D3AC6000 180393D2 D3AD8CE0 878241B0
	v_mfma_scale_f32_16x16x128_f8f6f4 a[228:231], v[176:179], v[36:39], a[228:231], v210, v201 op_sel_hi:[0,0,0] cbsz:4 blgp:4// 000000004274: D3AC7000 180393D2 D3AD8CE4 879249B0
	v_mfma_scale_f32_16x16x128_f8f6f4 a[232:235], v[180:183], v[32:35], a[232:235], v210, v201 op_sel_hi:[0,0,0] cbsz:4 blgp:4// 000000004284: D3AC6800 180393D2 D3AD8CE8 87A241B4
	v_mfma_scale_f32_16x16x128_f8f6f4 a[236:239], v[180:183], v[36:39], a[236:239], v210, v201 op_sel_hi:[0,0,0] cbsz:4 blgp:4// 000000004294: D3AC7800 180393D2 D3AD8CEC 87B249B4
	s_waitcnt vmcnt(10)                                        // 0000000042A4: BF8C0F7A
	s_barrier                                                  // 0000000042A8: BF8A0000
	v_mfma_scale_f32_16x16x128_f8f6f4 a[112:115], v[184:187], v[8:11], a[112:115], v211, v200 op_sel_hi:[0,0,0] cbsz:4 blgp:4// 0000000042AC: D3AC6000 000391D3 D3AD8C70 85C211B8
	s_addk_i32 s60, 0x100                                      // 0000000042BC: B73C0100
	ds_read_b128 v[40:43], v215                                // 0000000042C0: D9FE0000 280000D7
	v_mfma_scale_f32_16x16x128_f8f6f4 a[116:119], v[184:187], v[12:15], a[116:119], v211, v200 op_sel_hi:[0,0,0] cbsz:4 blgp:4// 0000000042C8: D3AC7000 000391D3 D3AD8C74 85D219B8
	s_cmp_lt_i32 s60, s61                                      // 0000000042D8: BF043D3C
	buffer_load_dwordx4 v[104:107], v222, s[16:19], 0 offen    // 0000000042DC: E05C1000 800468DE
	v_mfma_scale_f32_16x16x128_f8f6f4 a[120:123], v[188:191], v[8:11], a[120:123], v211, v200 op_sel_hi:[0,0,0] cbsz:4 blgp:4// 0000000042E4: D3AC6800 000391D3 D3AD8C78 85E211BC
	ds_read_b128 v[48:51], v215 offset:64                      // 0000000042F4: D9FE0040 300000D7
	v_mfma_scale_f32_16x16x128_f8f6f4 a[124:127], v[188:191], v[12:15], a[124:127], v211, v200 op_sel_hi:[0,0,0] cbsz:4 blgp:4// 0000000042FC: D3AC7800 000391D3 D3AD8C7C 85F219BC
	buffer_load_dwordx4 v[108:111], v223, s[16:19], 0 offen    // 00000000430C: E05C1000 80046CDF
	v_mfma_scale_f32_16x16x128_f8f6f4 a[112:115], v[192:195], v[16:19], a[112:115], v211, v200 op_sel_hi:[0,0,0] cbsz:4 blgp:4// 000000004314: D3AC6000 180391D3 D3AD8C70 85C221C0
	ds_read_b128 v[44:47], v215 offset:512                     // 000000004324: D9FE0200 2C0000D7
	v_mfma_scale_f32_16x16x128_f8f6f4 a[116:119], v[192:195], v[20:23], a[116:119], v211, v200 op_sel_hi:[0,0,0] cbsz:4 blgp:4// 00000000432C: D3AC7000 180391D3 D3AD8C74 85D229C0
	buffer_load_dwordx4 v[112:115], v222, s[16:19], 0 offen offset:1024// 00000000433C: E05C1400 800470DE
	v_mfma_scale_f32_16x16x128_f8f6f4 a[120:123], v[196:199], v[16:19], a[120:123], v211, v200 op_sel_hi:[0,0,0] cbsz:4 blgp:4// 000000004344: D3AC6800 180391D3 D3AD8C78 85E221C4
	ds_read_b128 v[52:55], v215 offset:576                     // 000000004354: D9FE0240 340000D7
	v_mfma_scale_f32_16x16x128_f8f6f4 a[124:127], v[196:199], v[20:23], a[124:127], v211, v200 op_sel_hi:[0,0,0] cbsz:4 blgp:4// 00000000435C: D3AC7800 180391D3 D3AD8C7C 85F229C4
	buffer_load_dwordx4 v[116:119], v223, s[16:19], 0 offen offset:1024// 00000000436C: E05C1400 800474DF
	ds_read_b32 v202, v217 offset:1024                         // 000000004374: D86C0400 CA0000D9
	v_mfma_scale_f32_16x16x128_f8f6f4 a[240:243], v[184:187], v[24:27], a[240:243], v211, v201 op_sel_hi:[0,0,0] cbsz:4 blgp:4// 00000000437C: D3AC6000 000393D3 D3AD8CF0 87C231B8
	ds_read_b128 v[56:59], v215 offset:4224                    // 00000000438C: D9FE1080 380000D7
	v_mfma_scale_f32_16x16x128_f8f6f4 a[244:247], v[184:187], v[28:31], a[244:247], v211, v201 op_sel_hi:[0,0,0] cbsz:4 blgp:4// 000000004394: D3AC7000 000393D3 D3AD8CF4 87D239B8
	buffer_load_dword v206, v236, s[24:27], 0 offen            // 0000000043A4: E0501000 8006CEEC
	v_mfma_scale_f32_16x16x128_f8f6f4 a[248:251], v[188:191], v[24:27], a[248:251], v211, v201 op_sel_hi:[0,0,0] cbsz:4 blgp:4// 0000000043AC: D3AC6800 000393D3 D3AD8CF8 87E231BC
	ds_read_b128 v[64:67], v215 offset:4288                    // 0000000043BC: D9FE10C0 400000D7
	v_mfma_scale_f32_16x16x128_f8f6f4 a[252:255], v[188:191], v[28:31], a[252:255], v211, v201 op_sel_hi:[0,0,0] cbsz:4 blgp:4// 0000000043C4: D3AC7800 000393D3 D3AD8CFC 87F239BC
	v_mfma_scale_f32_16x16x128_f8f6f4 a[240:243], v[192:195], v[32:35], a[240:243], v211, v201 op_sel_hi:[0,0,0] cbsz:4 blgp:4// 0000000043D4: D3AC6000 180393D3 D3AD8CF0 87C241C0
	ds_read_b128 v[60:63], v215 offset:4736                    // 0000000043E4: D9FE1280 3C0000D7
	v_mfma_scale_f32_16x16x128_f8f6f4 a[244:247], v[192:195], v[36:39], a[244:247], v211, v201 op_sel_hi:[0,0,0] cbsz:4 blgp:4// 0000000043EC: D3AC7000 180393D3 D3AD8CF4 87D249C0
	v_mfma_scale_f32_16x16x128_f8f6f4 a[248:251], v[196:199], v[32:35], a[248:251], v211, v201 op_sel_hi:[0,0,0] cbsz:4 blgp:4// 0000000043FC: D3AC6800 180393D3 D3AD8CF8 87E241C4
	ds_read_b128 v[68:71], v215 offset:4800                    // 00000000440C: D9FE12C0 440000D7
	v_mfma_scale_f32_16x16x128_f8f6f4 a[252:255], v[196:199], v[36:39], a[252:255], v211, v201 op_sel_hi:[0,0,0] cbsz:4 blgp:4// 000000004414: D3AC7800 180393D3 D3AD8CFC 87F249C4
	ds_read_b32 v203, v217 offset:1280                         // 000000004424: D86C0500 CB0000D9
	s_cbranch_scc0 label_0DC3                                  // 00000000442C: BF8407B7
	s_waitcnt vmcnt(10) lgkmcnt(5)                             // 000000004430: BF8C057A
	v_mfma_scale_f32_16x16x128_f8f6f4 a[0:3], v[72:75], v[40:43], a[0:3], v204, v202 op_sel_hi:[0,0,0] cbsz:4 blgp:4// 000000004434: D3AC6000 000395CC D3AD8C00 84025148
	v_mfma_scale_f32_16x16x128_f8f6f4 a[4:7], v[72:75], v[44:47], a[4:7], v204, v202 op_sel_hi:[0,0,0] cbsz:4 blgp:4// 000000004444: D3AC7000 000395CC D3AD8C04 84125948
	buffer_load_dwordx4 v[120:123], v224, s[16:19], 0 offen    // 000000004454: E05C1000 800478E0
	v_mfma_scale_f32_16x16x128_f8f6f4 a[8:11], v[76:79], v[40:43], a[8:11], v204, v202 op_sel_hi:[0,0,0] cbsz:4 blgp:4// 00000000445C: D3AC6800 000395CC D3AD8C08 8422514C
	v_mfma_scale_f32_16x16x128_f8f6f4 a[12:15], v[76:79], v[44:47], a[12:15], v204, v202 op_sel_hi:[0,0,0] cbsz:4 blgp:4// 00000000446C: D3AC7800 000395CC D3AD8C0C 8432594C
	buffer_load_dwordx4 v[124:127], v225, s[16:19], 0 offen    // 00000000447C: E05C1000 80047CE1
	v_mfma_scale_f32_16x16x128_f8f6f4 a[0:3], v[80:83], v[48:51], a[0:3], v204, v202 op_sel_hi:[0,0,0] cbsz:4 blgp:4// 000000004484: D3AC6000 180395CC D3AD8C00 84026150
	v_mfma_scale_f32_16x16x128_f8f6f4 a[4:7], v[80:83], v[52:55], a[4:7], v204, v202 op_sel_hi:[0,0,0] cbsz:4 blgp:4// 000000004494: D3AC7000 180395CC D3AD8C04 84126950
	buffer_load_dwordx4 v[128:131], v224, s[16:19], 0 offen offset:1024// 0000000044A4: E05C1400 800480E0
	v_mfma_scale_f32_16x16x128_f8f6f4 a[8:11], v[84:87], v[48:51], a[8:11], v204, v202 op_sel_hi:[0,0,0] cbsz:4 blgp:4// 0000000044AC: D3AC6800 180395CC D3AD8C08 84226154
	v_mfma_scale_f32_16x16x128_f8f6f4 a[12:15], v[84:87], v[52:55], a[12:15], v204, v202 op_sel_hi:[0,0,0] cbsz:4 blgp:4// 0000000044BC: D3AC7800 180395CC D3AD8C0C 84326954
	buffer_load_dwordx4 v[132:135], v225, s[16:19], 0 offen offset:1024// 0000000044CC: E05C1400 800484E1
	s_waitcnt lgkmcnt(0)                                       // 0000000044D4: BF8CC07F
	v_mfma_scale_f32_16x16x128_f8f6f4 a[128:131], v[72:75], v[56:59], a[128:131], v204, v203 op_sel_hi:[0,0,0] cbsz:4 blgp:4// 0000000044D8: D3AC6000 000397CC D3AD8C80 86027148
	v_mfma_scale_f32_16x16x128_f8f6f4 a[132:135], v[72:75], v[60:63], a[132:135], v204, v203 op_sel_hi:[0,0,0] cbsz:4 blgp:4// 0000000044E8: D3AC7000 000397CC D3AD8C84 86127948
	buffer_load_dword v207, v237, s[24:27], 0 offen            // 0000000044F8: E0501000 8006CFED
	v_mfma_scale_f32_16x16x128_f8f6f4 a[136:139], v[76:79], v[56:59], a[136:139], v204, v203 op_sel_hi:[0,0,0] cbsz:4 blgp:4// 000000004500: D3AC6800 000397CC D3AD8C88 8622714C
	v_mfma_scale_f32_16x16x128_f8f6f4 a[140:143], v[76:79], v[60:63], a[140:143], v204, v203 op_sel_hi:[0,0,0] cbsz:4 blgp:4// 000000004510: D3AC7800 000397CC D3AD8C8C 8632794C
	v_mfma_scale_f32_16x16x128_f8f6f4 a[128:131], v[80:83], v[64:67], a[128:131], v204, v203 op_sel_hi:[0,0,0] cbsz:4 blgp:4// 000000004520: D3AC6000 180397CC D3AD8C80 86028150
	v_mfma_scale_f32_16x16x128_f8f6f4 a[132:135], v[80:83], v[68:71], a[132:135], v204, v203 op_sel_hi:[0,0,0] cbsz:4 blgp:4// 000000004530: D3AC7000 180397CC D3AD8C84 86128950
	v_mfma_scale_f32_16x16x128_f8f6f4 a[136:139], v[84:87], v[64:67], a[136:139], v204, v203 op_sel_hi:[0,0,0] cbsz:4 blgp:4// 000000004540: D3AC6800 180397CC D3AD8C88 86228154
	v_mfma_scale_f32_16x16x128_f8f6f4 a[140:143], v[84:87], v[68:71], a[140:143], v204, v203 op_sel_hi:[0,0,0] cbsz:4 blgp:4// 000000004550: D3AC7800 180397CC D3AD8C8C 86328954
	s_waitcnt vmcnt(10)                                        // 000000004560: BF8C0F7A
	v_mfma_scale_f32_16x16x128_f8f6f4 a[16:19], v[88:91], v[40:43], a[16:19], v205, v202 op_sel_hi:[0,0,0] cbsz:4 blgp:4// 000000004564: D3AC6000 000395CD D3AD8C10 84425158
	v_mfma_scale_f32_16x16x128_f8f6f4 a[20:23], v[88:91], v[44:47], a[20:23], v205, v202 op_sel_hi:[0,0,0] cbsz:4 blgp:4// 000000004574: D3AC7000 000395CD D3AD8C14 84525958
	buffer_load_dwordx4 v[136:139], v226, s[16:19], 0 offen    // 000000004584: E05C1000 800488E2
	v_mfma_scale_f32_16x16x128_f8f6f4 a[24:27], v[92:95], v[40:43], a[24:27], v205, v202 op_sel_hi:[0,0,0] cbsz:4 blgp:4// 00000000458C: D3AC6800 000395CD D3AD8C18 8462515C
	v_mfma_scale_f32_16x16x128_f8f6f4 a[28:31], v[92:95], v[44:47], a[28:31], v205, v202 op_sel_hi:[0,0,0] cbsz:4 blgp:4// 00000000459C: D3AC7800 000395CD D3AD8C1C 8472595C
	buffer_load_dwordx4 v[140:143], v227, s[16:19], 0 offen    // 0000000045AC: E05C1000 80048CE3
	v_mfma_scale_f32_16x16x128_f8f6f4 a[16:19], v[96:99], v[48:51], a[16:19], v205, v202 op_sel_hi:[0,0,0] cbsz:4 blgp:4// 0000000045B4: D3AC6000 180395CD D3AD8C10 84426160
	v_mfma_scale_f32_16x16x128_f8f6f4 a[20:23], v[96:99], v[52:55], a[20:23], v205, v202 op_sel_hi:[0,0,0] cbsz:4 blgp:4// 0000000045C4: D3AC7000 180395CD D3AD8C14 84526960
	buffer_load_dwordx4 v[144:147], v226, s[16:19], 0 offen offset:1024// 0000000045D4: E05C1400 800490E2
	v_mfma_scale_f32_16x16x128_f8f6f4 a[24:27], v[100:103], v[48:51], a[24:27], v205, v202 op_sel_hi:[0,0,0] cbsz:4 blgp:4// 0000000045DC: D3AC6800 180395CD D3AD8C18 84626164
	v_mfma_scale_f32_16x16x128_f8f6f4 a[28:31], v[100:103], v[52:55], a[28:31], v205, v202 op_sel_hi:[0,0,0] cbsz:4 blgp:4// 0000000045EC: D3AC7800 180395CD D3AD8C1C 84726964
	buffer_load_dwordx4 v[148:151], v227, s[16:19], 0 offen offset:1024// 0000000045FC: E05C1400 800494E3
	v_mfma_scale_f32_16x16x128_f8f6f4 a[144:147], v[88:91], v[56:59], a[144:147], v205, v203 op_sel_hi:[0,0,0] cbsz:4 blgp:4// 000000004604: D3AC6000 000397CD D3AD8C90 86427158
	v_mfma_scale_f32_16x16x128_f8f6f4 a[148:151], v[88:91], v[60:63], a[148:151], v205, v203 op_sel_hi:[0,0,0] cbsz:4 blgp:4// 000000004614: D3AC7000 000397CD D3AD8C94 86527958
	buffer_load_dword v208, v238, s[24:27], 0 offen            // 000000004624: E0501000 8006D0EE
	v_mfma_scale_f32_16x16x128_f8f6f4 a[152:155], v[92:95], v[56:59], a[152:155], v205, v203 op_sel_hi:[0,0,0] cbsz:4 blgp:4// 00000000462C: D3AC6800 000397CD D3AD8C98 8662715C
	v_mfma_scale_f32_16x16x128_f8f6f4 a[156:159], v[92:95], v[60:63], a[156:159], v205, v203 op_sel_hi:[0,0,0] cbsz:4 blgp:4// 00000000463C: D3AC7800 000397CD D3AD8C9C 8672795C
	v_mfma_scale_f32_16x16x128_f8f6f4 a[144:147], v[96:99], v[64:67], a[144:147], v205, v203 op_sel_hi:[0,0,0] cbsz:4 blgp:4// 00000000464C: D3AC6000 180397CD D3AD8C90 86428160
	v_mfma_scale_f32_16x16x128_f8f6f4 a[148:151], v[96:99], v[68:71], a[148:151], v205, v203 op_sel_hi:[0,0,0] cbsz:4 blgp:4// 00000000465C: D3AC7000 180397CD D3AD8C94 86528960
	v_mfma_scale_f32_16x16x128_f8f6f4 a[152:155], v[100:103], v[64:67], a[152:155], v205, v203 op_sel_hi:[0,0,0] cbsz:4 blgp:4// 00000000466C: D3AC6800 180397CD D3AD8C98 86628164
	v_mfma_scale_f32_16x16x128_f8f6f4 a[156:159], v[100:103], v[68:71], a[156:159], v205, v203 op_sel_hi:[0,0,0] cbsz:4 blgp:4// 00000000467C: D3AC7800 180397CD D3AD8C9C 86728964
	s_waitcnt vmcnt(10)                                        // 00000000468C: BF8C0F7A
	v_mfma_scale_f32_16x16x128_f8f6f4 a[32:35], v[104:107], v[40:43], a[32:35], v206, v202 op_sel_hi:[0,0,0] cbsz:4 blgp:4// 000000004690: D3AC6000 000395CE D3AD8C20 84825168
	v_mfma_scale_f32_16x16x128_f8f6f4 a[36:39], v[104:107], v[44:47], a[36:39], v206, v202 op_sel_hi:[0,0,0] cbsz:4 blgp:4// 0000000046A0: D3AC7000 000395CE D3AD8C24 84925968
	buffer_load_dwordx4 v[152:155], v228, s[16:19], 0 offen    // 0000000046B0: E05C1000 800498E4
	v_mfma_scale_f32_16x16x128_f8f6f4 a[40:43], v[108:111], v[40:43], a[40:43], v206, v202 op_sel_hi:[0,0,0] cbsz:4 blgp:4// 0000000046B8: D3AC6800 000395CE D3AD8C28 84A2516C
	v_mfma_scale_f32_16x16x128_f8f6f4 a[44:47], v[108:111], v[44:47], a[44:47], v206, v202 op_sel_hi:[0,0,0] cbsz:4 blgp:4// 0000000046C8: D3AC7800 000395CE D3AD8C2C 84B2596C
	buffer_load_dwordx4 v[156:159], v229, s[16:19], 0 offen    // 0000000046D8: E05C1000 80049CE5
	v_mfma_scale_f32_16x16x128_f8f6f4 a[32:35], v[112:115], v[48:51], a[32:35], v206, v202 op_sel_hi:[0,0,0] cbsz:4 blgp:4// 0000000046E0: D3AC6000 180395CE D3AD8C20 84826170
	v_mfma_scale_f32_16x16x128_f8f6f4 a[36:39], v[112:115], v[52:55], a[36:39], v206, v202 op_sel_hi:[0,0,0] cbsz:4 blgp:4// 0000000046F0: D3AC7000 180395CE D3AD8C24 84926970
	buffer_load_dwordx4 v[160:163], v228, s[16:19], 0 offen offset:1024// 000000004700: E05C1400 8004A0E4
	v_mfma_scale_f32_16x16x128_f8f6f4 a[40:43], v[116:119], v[48:51], a[40:43], v206, v202 op_sel_hi:[0,0,0] cbsz:4 blgp:4// 000000004708: D3AC6800 180395CE D3AD8C28 84A26174
	v_mfma_scale_f32_16x16x128_f8f6f4 a[44:47], v[116:119], v[52:55], a[44:47], v206, v202 op_sel_hi:[0,0,0] cbsz:4 blgp:4// 000000004718: D3AC7800 180395CE D3AD8C2C 84B26974
	buffer_load_dwordx4 v[164:167], v229, s[16:19], 0 offen offset:1024// 000000004728: E05C1400 8004A4E5
	v_mfma_scale_f32_16x16x128_f8f6f4 a[160:163], v[104:107], v[56:59], a[160:163], v206, v203 op_sel_hi:[0,0,0] cbsz:4 blgp:4// 000000004730: D3AC6000 000397CE D3AD8CA0 86827168
	v_mfma_scale_f32_16x16x128_f8f6f4 a[164:167], v[104:107], v[60:63], a[164:167], v206, v203 op_sel_hi:[0,0,0] cbsz:4 blgp:4// 000000004740: D3AC7000 000397CE D3AD8CA4 86927968
	buffer_load_dword v209, v239, s[24:27], 0 offen            // 000000004750: E0501000 8006D1EF
	v_mfma_scale_f32_16x16x128_f8f6f4 a[168:171], v[108:111], v[56:59], a[168:171], v206, v203 op_sel_hi:[0,0,0] cbsz:4 blgp:4// 000000004758: D3AC6800 000397CE D3AD8CA8 86A2716C
	v_mfma_scale_f32_16x16x128_f8f6f4 a[172:175], v[108:111], v[60:63], a[172:175], v206, v203 op_sel_hi:[0,0,0] cbsz:4 blgp:4// 000000004768: D3AC7800 000397CE D3AD8CAC 86B2796C
	v_mfma_scale_f32_16x16x128_f8f6f4 a[160:163], v[112:115], v[64:67], a[160:163], v206, v203 op_sel_hi:[0,0,0] cbsz:4 blgp:4// 000000004778: D3AC6000 180397CE D3AD8CA0 86828170
	v_mfma_scale_f32_16x16x128_f8f6f4 a[164:167], v[112:115], v[68:71], a[164:167], v206, v203 op_sel_hi:[0,0,0] cbsz:4 blgp:4// 000000004788: D3AC7000 180397CE D3AD8CA4 86928970
	v_mfma_scale_f32_16x16x128_f8f6f4 a[168:171], v[116:119], v[64:67], a[168:171], v206, v203 op_sel_hi:[0,0,0] cbsz:4 blgp:4// 000000004798: D3AC6800 180397CE D3AD8CA8 86A28174
	v_mfma_scale_f32_16x16x128_f8f6f4 a[172:175], v[116:119], v[68:71], a[172:175], v206, v203 op_sel_hi:[0,0,0] cbsz:4 blgp:4// 0000000047A8: D3AC7800 180397CE D3AD8CAC 86B28974
	s_waitcnt vmcnt(10)                                        // 0000000047B8: BF8C0F7A
	v_mfma_scale_f32_16x16x128_f8f6f4 a[48:51], v[120:123], v[40:43], a[48:51], v207, v202 op_sel_hi:[0,0,0] cbsz:4 blgp:4// 0000000047BC: D3AC6000 000395CF D3AD8C30 84C25178
	v_mfma_scale_f32_16x16x128_f8f6f4 a[52:55], v[120:123], v[44:47], a[52:55], v207, v202 op_sel_hi:[0,0,0] cbsz:4 blgp:4// 0000000047CC: D3AC3000 000395CF D3AD8C34 84D25978
	buffer_load_dwordx4 v[168:171], v230, s[16:19], 0 offen    // 0000000047DC: E05C1000 8004A8E6
	v_mfma_scale_f32_16x16x128_f8f6f4 a[56:59], v[124:127], v[40:43], a[56:59], v207, v202 op_sel_hi:[0,0,0] cbsz:4 blgp:4// 0000000047E4: D3AC6800 000395CF D3AD8C38 84E2517C
	v_mfma_scale_f32_16x16x128_f8f6f4 a[60:63], v[124:127], v[44:47], a[60:63], v207, v202 op_sel_hi:[0,0,0] cbsz:4 blgp:4// 0000000047F4: D3AC7800 000395CF D3AD8C3C 84F2597C
	buffer_load_dwordx4 v[172:175], v231, s[16:19], 0 offen    // 000000004804: E05C1000 8004ACE7
	v_mfma_scale_f32_16x16x128_f8f6f4 a[48:51], v[128:131], v[48:51], a[48:51], v207, v202 op_sel_hi:[0,0,0] cbsz:4 blgp:4// 00000000480C: D3AC6000 180395CF D3AD8C30 84C26180
	v_mfma_scale_f32_16x16x128_f8f6f4 a[52:55], v[128:131], v[52:55], a[52:55], v207, v202 op_sel_hi:[0,0,0] cbsz:4 blgp:4// 00000000481C: D3AC7000 180395CF D3AD8C34 84D26980
	buffer_load_dwordx4 v[176:179], v230, s[16:19], 0 offen offset:1024// 00000000482C: E05C1400 8004B0E6
	v_mfma_scale_f32_16x16x128_f8f6f4 a[56:59], v[132:135], v[48:51], a[56:59], v207, v202 op_sel_hi:[0,0,0] cbsz:4 blgp:4// 000000004834: D3AC6800 180395CF D3AD8C38 84E26184
	v_mfma_scale_f32_16x16x128_f8f6f4 a[60:63], v[132:135], v[52:55], a[60:63], v207, v202 op_sel_hi:[0,0,0] cbsz:4 blgp:4// 000000004844: D3AC7800 180395CF D3AD8C3C 84F26984
	buffer_load_dwordx4 v[180:183], v231, s[16:19], 0 offen offset:1024// 000000004854: E05C1400 8004B4E7
	v_mfma_scale_f32_16x16x128_f8f6f4 a[176:179], v[120:123], v[56:59], a[176:179], v207, v203 op_sel_hi:[0,0,0] cbsz:4 blgp:4// 00000000485C: D3AC6000 000397CF D3AD8CB0 86C27178
	v_mfma_scale_f32_16x16x128_f8f6f4 a[180:183], v[120:123], v[60:63], a[180:183], v207, v203 op_sel_hi:[0,0,0] cbsz:4 blgp:4// 00000000486C: D3AC7000 000397CF D3AD8CB4 86D27978
	buffer_load_dword v210, v240, s[24:27], 0 offen            // 00000000487C: E0501000 8006D2F0
	v_mfma_scale_f32_16x16x128_f8f6f4 a[184:187], v[124:127], v[56:59], a[184:187], v207, v203 op_sel_hi:[0,0,0] cbsz:4 blgp:4// 000000004884: D3AC6800 000397CF D3AD8CB8 86E2717C
	v_mfma_scale_f32_16x16x128_f8f6f4 a[188:191], v[124:127], v[60:63], a[188:191], v207, v203 op_sel_hi:[0,0,0] cbsz:4 blgp:4// 000000004894: D3AC7800 000397CF D3AD8CBC 86F2797C
	v_mfma_scale_f32_16x16x128_f8f6f4 a[176:179], v[128:131], v[64:67], a[176:179], v207, v203 op_sel_hi:[0,0,0] cbsz:4 blgp:4// 0000000048A4: D3AC6000 180397CF D3AD8CB0 86C28180
	v_mfma_scale_f32_16x16x128_f8f6f4 a[180:183], v[128:131], v[68:71], a[180:183], v207, v203 op_sel_hi:[0,0,0] cbsz:4 blgp:4// 0000000048B4: D3AC7000 180397CF D3AD8CB4 86D28980
	v_mfma_scale_f32_16x16x128_f8f6f4 a[184:187], v[132:135], v[64:67], a[184:187], v207, v203 op_sel_hi:[0,0,0] cbsz:4 blgp:4// 0000000048C4: D3AC6800 180397CF D3AD8CB8 86E28184
	v_mfma_scale_f32_16x16x128_f8f6f4 a[188:191], v[132:135], v[68:71], a[188:191], v207, v203 op_sel_hi:[0,0,0] cbsz:4 blgp:4// 0000000048D4: D3AC7800 180397CF D3AD8CBC 86F28984
	s_waitcnt vmcnt(10)                                        // 0000000048E4: BF8C0F7A
	v_mfma_scale_f32_16x16x128_f8f6f4 a[64:67], v[136:139], v[40:43], a[64:67], v208, v202 op_sel_hi:[0,0,0] cbsz:4 blgp:4// 0000000048E8: D3AC6000 000395D0 D3AD8C40 85025188
	s_add_u32 s63, 0x100, s60                                  // 0000000048F8: 803F3CFF 00000100
	s_cmp_lt_u32 s63, s61                                      // 000000004900: BF0A3D3F
	v_mfma_scale_f32_16x16x128_f8f6f4 a[68:71], v[136:139], v[44:47], a[68:71], v208, v202 op_sel_hi:[0,0,0] cbsz:4 blgp:4// 000000004904: D3AC7000 000395D0 D3AD8C44 85125988
	s_cselect_b32 s67, s67, 0                                  // 000000004914: 85438043
	buffer_load_dwordx4 v[184:187], v232, s[16:19], 0 offen    // 000000004918: E05C1000 8004B8E8
	v_mfma_scale_f32_16x16x128_f8f6f4 a[72:75], v[140:143], v[40:43], a[72:75], v208, v202 op_sel_hi:[0,0,0] cbsz:4 blgp:4// 000000004920: D3AC6800 000395D0 D3AD8C48 8522518C
	s_cselect_b32 s69, s69, 0                                  // 000000004930: 85458045
	v_mfma_scale_f32_16x16x128_f8f6f4 a[76:79], v[140:143], v[44:47], a[76:79], v208, v202 op_sel_hi:[0,0,0] cbsz:4 blgp:4// 000000004934: D3AC7800 000395D0 D3AD8C4C 8532598C
	buffer_load_dwordx4 v[188:191], v233, s[16:19], 0 offen    // 000000004944: E05C1000 8004BCE9
	v_mfma_scale_f32_16x16x128_f8f6f4 a[64:67], v[144:147], v[48:51], a[64:67], v208, v202 op_sel_hi:[0,0,0] cbsz:4 blgp:4// 00000000494C: D3AC6000 180395D0 D3AD8C40 85026190
	v_mfma_scale_f32_16x16x128_f8f6f4 a[68:71], v[144:147], v[52:55], a[68:71], v208, v202 op_sel_hi:[0,0,0] cbsz:4 blgp:4// 00000000495C: D3AC7000 180395D0 D3AD8C44 85126990
	buffer_load_dwordx4 v[192:195], v232, s[16:19], 0 offen offset:1024// 00000000496C: E05C1400 8004C0E8
	v_mfma_scale_f32_16x16x128_f8f6f4 a[72:75], v[148:151], v[48:51], a[72:75], v208, v202 op_sel_hi:[0,0,0] cbsz:4 blgp:4// 000000004974: D3AC6800 180395D0 D3AD8C48 85226194
	v_mfma_scale_f32_16x16x128_f8f6f4 a[76:79], v[148:151], v[52:55], a[76:79], v208, v202 op_sel_hi:[0,0,0] cbsz:4 blgp:4// 000000004984: D3AC7800 180395D0 D3AD8C4C 85326994
	buffer_load_dwordx4 v[196:199], v233, s[16:19], 0 offen offset:1024// 000000004994: E05C1400 8004C4E9
	v_mfma_scale_f32_16x16x128_f8f6f4 a[192:195], v[136:139], v[56:59], a[192:195], v208, v203 op_sel_hi:[0,0,0] cbsz:4 blgp:4// 00000000499C: D3AC6000 000397D0 D3AD8CC0 87027188
	v_mfma_scale_f32_16x16x128_f8f6f4 a[196:199], v[136:139], v[60:63], a[196:199], v208, v203 op_sel_hi:[0,0,0] cbsz:4 blgp:4// 0000000049AC: D3AC7000 000397D0 D3AD8CC4 87127988
	buffer_load_dword v211, v241, s[24:27], 0 offen            // 0000000049BC: E0501000 8006D3F1
	v_mfma_scale_f32_16x16x128_f8f6f4 a[200:203], v[140:143], v[56:59], a[200:203], v208, v203 op_sel_hi:[0,0,0] cbsz:4 blgp:4// 0000000049C4: D3AC6800 000397D0 D3AD8CC8 8722718C
	s_add_u32 s16, s16, s67                                    // 0000000049D4: 80104310
	s_addc_u32 s17, 0, s17                                     // 0000000049D8: 82111180
	v_mfma_scale_f32_16x16x128_f8f6f4 a[204:207], v[140:143], v[60:63], a[204:207], v208, v203 op_sel_hi:[0,0,0] cbsz:4 blgp:4// 0000000049DC: D3AC7800 000397D0 D3AD8CCC 8732798C
	s_sub_u32 s18, s18, s67                                    // 0000000049EC: 80924312
	s_add_u32 s24, s24, s69                                    // 0000000049F0: 80184518
	v_mfma_scale_f32_16x16x128_f8f6f4 a[192:195], v[144:147], v[64:67], a[192:195], v208, v203 op_sel_hi:[0,0,0] cbsz:4 blgp:4// 0000000049F4: D3AC6000 180397D0 D3AD8CC0 87028190
	s_addc_u32 s25, 0, s25                                     // 000000004A04: 82191980
	s_sub_u32 s26, s26, s69                                    // 000000004A08: 809A451A
	v_mfma_scale_f32_16x16x128_f8f6f4 a[196:199], v[144:147], v[68:71], a[196:199], v208, v203 op_sel_hi:[0,0,0] cbsz:4 blgp:4// 000000004A0C: D3AC7000 180397D0 D3AD8CC4 87128990
	s_add_u32 m0, 0, s65                                       // 000000004A1C: 807C4180
	buffer_load_dword v216, s[20:23], 0 offen lds              // 000000004A20: E0511000 800500D8
	v_mfma_scale_f32_16x16x128_f8f6f4 a[200:203], v[148:151], v[64:67], a[200:203], v208, v203 op_sel_hi:[0,0,0] cbsz:4 blgp:4// 000000004A28: D3AC6800 180397D0 D3AD8CC8 87228194
	v_mfma_scale_f32_16x16x128_f8f6f4 a[204:207], v[148:151], v[68:71], a[204:207], v208, v203 op_sel_hi:[0,0,0] cbsz:4 blgp:4// 000000004A38: D3AC7800 180397D0 D3AD8CCC 87328994
	s_waitcnt vmcnt(11)                                        // 000000004A48: BF8C0F7B
	v_mfma_scale_f32_16x16x128_f8f6f4 a[80:83], v[152:155], v[40:43], a[80:83], v209, v202 op_sel_hi:[0,0,0] cbsz:4 blgp:4// 000000004A4C: D3AC6000 000395D1 D3AD8C50 85425198
	v_mfma_scale_f32_16x16x128_f8f6f4 a[84:87], v[152:155], v[44:47], a[84:87], v209, v202 op_sel_hi:[0,0,0] cbsz:4 blgp:4// 000000004A5C: D3AC7000 000395D1 D3AD8C54 85525998
	s_add_u32 m0, 0, s64                                       // 000000004A6C: 807C4080
	buffer_load_dwordx4 v212, s[12:15], 0 offen lds            // 000000004A70: E05D1000 800300D4
	v_mfma_scale_f32_16x16x128_f8f6f4 a[88:91], v[156:159], v[40:43], a[88:91], v209, v202 op_sel_hi:[0,0,0] cbsz:4 blgp:4// 000000004A78: D3AC6800 000395D1 D3AD8C58 8562519C
	v_mfma_scale_f32_16x16x128_f8f6f4 a[92:95], v[156:159], v[44:47], a[92:95], v209, v202 op_sel_hi:[0,0,0] cbsz:4 blgp:4// 000000004A88: D3AC7800 000395D1 D3AD8C5C 8572599C
	s_add_u32 m0, 0x1080, s64                                  // 000000004A98: 807C40FF 00001080
	buffer_load_dwordx4 v213, s[12:15], 0 offen lds            // 000000004AA0: E05D1000 800300D5
	v_mfma_scale_f32_16x16x128_f8f6f4 a[80:83], v[160:163], v[48:51], a[80:83], v209, v202 op_sel_hi:[0,0,0] cbsz:4 blgp:4// 000000004AA8: D3AC6000 180395D1 D3AD8C50 854261A0
	s_add_u32 s62, 0x200, s60                                  // 000000004AB8: 803E3CFF 00000200
	s_cmp_lt_u32 s62, s61                                      // 000000004AC0: BF0A3D3E
	v_mfma_scale_f32_16x16x128_f8f6f4 a[84:87], v[160:163], v[52:55], a[84:87], v209, v202 op_sel_hi:[0,0,0] cbsz:4 blgp:4// 000000004AC4: D3AC7000 180395D1 D3AD8C54 855269A0
	s_cselect_b32 s66, s66, 0                                  // 000000004AD4: 85428042
	buffer_load_dwordx4 v[72:75], v218, s[16:19], 0 offen      // 000000004AD8: E05C1000 800448DA
	v_mfma_scale_f32_16x16x128_f8f6f4 a[88:91], v[164:167], v[48:51], a[88:91], v209, v202 op_sel_hi:[0,0,0] cbsz:4 blgp:4// 000000004AE0: D3AC6800 180395D1 D3AD8C58 856261A4
	s_cselect_b32 s68, s68, 0                                  // 000000004AF0: 85448044
	s_add_u32 s12, s12, s66                                    // 000000004AF4: 800C420C
	v_mfma_scale_f32_16x16x128_f8f6f4 a[92:95], v[164:167], v[52:55], a[92:95], v209, v202 op_sel_hi:[0,0,0] cbsz:4 blgp:4// 000000004AF8: D3AC7800 180395D1 D3AD8C5C 857269A4
	s_addc_u32 s13, 0, s13                                     // 000000004B08: 820D0D80
	buffer_load_dwordx4 v[76:79], v219, s[16:19], 0 offen      // 000000004B0C: E05C1000 80044CDB
	v_mfma_scale_f32_16x16x128_f8f6f4 a[208:211], v[152:155], v[56:59], a[208:211], v209, v203 op_sel_hi:[0,0,0] cbsz:4 blgp:4// 000000004B14: D3AC6000 000397D1 D3AD8CD0 87427198
	s_sub_u32 s14, s14, s66                                    // 000000004B24: 808E420E
	s_add_u32 s20, s20, s68                                    // 000000004B28: 80144414
	v_mfma_scale_f32_16x16x128_f8f6f4 a[212:215], v[152:155], v[60:63], a[212:215], v209, v203 op_sel_hi:[0,0,0] cbsz:4 blgp:4// 000000004B2C: D3AC7000 000397D1 D3AD8CD4 87527998
	s_addc_u32 s21, 0, s21                                     // 000000004B3C: 82151580
	buffer_load_dwordx4 v[80:83], v218, s[16:19], 0 offen offset:1024// 000000004B40: E05C1400 800450DA
	v_mfma_scale_f32_16x16x128_f8f6f4 a[216:219], v[156:159], v[56:59], a[216:219], v209, v203 op_sel_hi:[0,0,0] cbsz:4 blgp:4// 000000004B48: D3AC6800 000397D1 D3AD8CD8 8762719C
	s_sub_u32 s22, s22, s68                                    // 000000004B58: 80964416
	v_mfma_scale_f32_16x16x128_f8f6f4 a[220:223], v[156:159], v[60:63], a[220:223], v209, v203 op_sel_hi:[0,0,0] cbsz:4 blgp:4// 000000004B5C: D3AC7800 000397D1 D3AD8CDC 8772799C
	buffer_load_dwordx4 v[84:87], v219, s[16:19], 0 offen offset:1024// 000000004B6C: E05C1400 800454DB
	v_mfma_scale_f32_16x16x128_f8f6f4 a[208:211], v[160:163], v[64:67], a[208:211], v209, v203 op_sel_hi:[0,0,0] cbsz:4 blgp:4// 000000004B74: D3AC6000 180397D1 D3AD8CD0 874281A0
	v_mfma_scale_f32_16x16x128_f8f6f4 a[212:215], v[160:163], v[68:71], a[212:215], v209, v203 op_sel_hi:[0,0,0] cbsz:4 blgp:4// 000000004B84: D3AC7000 180397D1 D3AD8CD4 875289A0
	buffer_load_dword v204, v234, s[24:27], 0 offen            // 000000004B94: E0501000 8006CCEA
	v_mfma_scale_f32_16x16x128_f8f6f4 a[216:219], v[164:167], v[64:67], a[216:219], v209, v203 op_sel_hi:[0,0,0] cbsz:4 blgp:4// 000000004B9C: D3AC6800 180397D1 D3AD8CD8 876281A4
	v_mfma_scale_f32_16x16x128_f8f6f4 a[220:223], v[164:167], v[68:71], a[220:223], v209, v203 op_sel_hi:[0,0,0] cbsz:4 blgp:4// 000000004BAC: D3AC7800 180397D1 D3AD8CDC 877289A4
	s_waitcnt vmcnt(13)                                        // 000000004BBC: BF8C0F7D
	v_mfma_scale_f32_16x16x128_f8f6f4 a[96:99], v[168:171], v[40:43], a[96:99], v210, v202 op_sel_hi:[0,0,0] cbsz:4 blgp:4// 000000004BC0: D3AC6000 000395D2 D3AD8C60 858251A8
	v_mfma_scale_f32_16x16x128_f8f6f4 a[100:103], v[168:171], v[44:47], a[100:103], v210, v202 op_sel_hi:[0,0,0] cbsz:4 blgp:4// 000000004BD0: D3AC7000 000395D2 D3AD8C64 859259A8
	buffer_load_dwordx4 v[88:91], v220, s[16:19], 0 offen      // 000000004BE0: E05C1000 800458DC
	v_mfma_scale_f32_16x16x128_f8f6f4 a[104:107], v[172:175], v[40:43], a[104:107], v210, v202 op_sel_hi:[0,0,0] cbsz:4 blgp:4// 000000004BE8: D3AC6800 000395D2 D3AD8C68 85A251AC
	v_mfma_scale_f32_16x16x128_f8f6f4 a[108:111], v[172:175], v[44:47], a[108:111], v210, v202 op_sel_hi:[0,0,0] cbsz:4 blgp:4// 000000004BF8: D3AC7800 000395D2 D3AD8C6C 85B259AC
	buffer_load_dwordx4 v[92:95], v221, s[16:19], 0 offen      // 000000004C08: E05C1000 80045CDD
	v_mfma_scale_f32_16x16x128_f8f6f4 a[96:99], v[176:179], v[48:51], a[96:99], v210, v202 op_sel_hi:[0,0,0] cbsz:4 blgp:4// 000000004C10: D3AC6000 180395D2 D3AD8C60 858261B0
	v_mfma_scale_f32_16x16x128_f8f6f4 a[100:103], v[176:179], v[52:55], a[100:103], v210, v202 op_sel_hi:[0,0,0] cbsz:4 blgp:4// 000000004C20: D3AC7000 180395D2 D3AD8C64 859269B0
	buffer_load_dwordx4 v[96:99], v220, s[16:19], 0 offen offset:1024// 000000004C30: E05C1400 800460DC
	v_mfma_scale_f32_16x16x128_f8f6f4 a[104:107], v[180:183], v[48:51], a[104:107], v210, v202 op_sel_hi:[0,0,0] cbsz:4 blgp:4// 000000004C38: D3AC6800 180395D2 D3AD8C68 85A261B4
	v_mfma_scale_f32_16x16x128_f8f6f4 a[108:111], v[180:183], v[52:55], a[108:111], v210, v202 op_sel_hi:[0,0,0] cbsz:4 blgp:4// 000000004C48: D3AC7800 180395D2 D3AD8C6C 85B269B4
	buffer_load_dwordx4 v[100:103], v221, s[16:19], 0 offen offset:1024// 000000004C58: E05C1400 800464DD
	v_mfma_scale_f32_16x16x128_f8f6f4 a[224:227], v[168:171], v[56:59], a[224:227], v210, v203 op_sel_hi:[0,0,0] cbsz:4 blgp:4// 000000004C60: D3AC6000 000397D2 D3AD8CE0 878271A8
	v_mfma_scale_f32_16x16x128_f8f6f4 a[228:231], v[168:171], v[60:63], a[228:231], v210, v203 op_sel_hi:[0,0,0] cbsz:4 blgp:4// 000000004C70: D3AC7000 000397D2 D3AD8CE4 879279A8
	buffer_load_dword v205, v235, s[24:27], 0 offen            // 000000004C80: E0501000 8006CDEB
	v_mfma_scale_f32_16x16x128_f8f6f4 a[232:235], v[172:175], v[56:59], a[232:235], v210, v203 op_sel_hi:[0,0,0] cbsz:4 blgp:4// 000000004C88: D3AC6800 000397D2 D3AD8CE8 87A271AC
	v_mfma_scale_f32_16x16x128_f8f6f4 a[236:239], v[172:175], v[60:63], a[236:239], v210, v203 op_sel_hi:[0,0,0] cbsz:4 blgp:4// 000000004C98: D3AC7800 000397D2 D3AD8CEC 87B279AC
	v_mfma_scale_f32_16x16x128_f8f6f4 a[224:227], v[176:179], v[64:67], a[224:227], v210, v203 op_sel_hi:[0,0,0] cbsz:4 blgp:4// 000000004CA8: D3AC6000 180397D2 D3AD8CE0 878281B0
	v_mfma_scale_f32_16x16x128_f8f6f4 a[228:231], v[176:179], v[68:71], a[228:231], v210, v203 op_sel_hi:[0,0,0] cbsz:4 blgp:4// 000000004CB8: D3AC7000 180397D2 D3AD8CE4 879289B0
	v_mfma_scale_f32_16x16x128_f8f6f4 a[232:235], v[180:183], v[64:67], a[232:235], v210, v203 op_sel_hi:[0,0,0] cbsz:4 blgp:4// 000000004CC8: D3AC6800 180397D2 D3AD8CE8 87A281B4
	v_mfma_scale_f32_16x16x128_f8f6f4 a[236:239], v[180:183], v[68:71], a[236:239], v210, v203 op_sel_hi:[0,0,0] cbsz:4 blgp:4// 000000004CD8: D3AC7800 180397D2 D3AD8CEC 87B289B4
	s_waitcnt vmcnt(10)                                        // 000000004CE8: BF8C0F7A
	s_barrier                                                  // 000000004CEC: BF8A0000
	v_mfma_scale_f32_16x16x128_f8f6f4 a[112:115], v[184:187], v[40:43], a[112:115], v211, v202 op_sel_hi:[0,0,0] cbsz:4 blgp:4// 000000004CF0: D3AC6000 000395D3 D3AD8C70 85C251B8
	s_addk_i32 s60, 0x100                                      // 000000004D00: B73C0100
	ds_read_b128 v[8:11], v214                                 // 000000004D04: D9FE0000 080000D6
	v_mfma_scale_f32_16x16x128_f8f6f4 a[116:119], v[184:187], v[44:47], a[116:119], v211, v202 op_sel_hi:[0,0,0] cbsz:4 blgp:4// 000000004D0C: D3AC7000 000395D3 D3AD8C74 85D259B8
	s_cmp_lt_i32 s60, s61                                      // 000000004D1C: BF043D3C
	buffer_load_dwordx4 v[104:107], v222, s[16:19], 0 offen    // 000000004D20: E05C1000 800468DE
	v_mfma_scale_f32_16x16x128_f8f6f4 a[120:123], v[188:191], v[40:43], a[120:123], v211, v202 op_sel_hi:[0,0,0] cbsz:4 blgp:4// 000000004D28: D3AC6800 000395D3 D3AD8C78 85E251BC
	ds_read_b128 v[16:19], v214 offset:64                      // 000000004D38: D9FE0040 100000D6
	v_mfma_scale_f32_16x16x128_f8f6f4 a[124:127], v[188:191], v[44:47], a[124:127], v211, v202 op_sel_hi:[0,0,0] cbsz:4 blgp:4// 000000004D40: D3AC7800 000395D3 D3AD8C7C 85F259BC
	buffer_load_dwordx4 v[108:111], v223, s[16:19], 0 offen    // 000000004D50: E05C1000 80046CDF
	v_mfma_scale_f32_16x16x128_f8f6f4 a[112:115], v[192:195], v[48:51], a[112:115], v211, v202 op_sel_hi:[0,0,0] cbsz:4 blgp:4// 000000004D58: D3AC6000 180395D3 D3AD8C70 85C261C0
	ds_read_b128 v[12:15], v214 offset:512                     // 000000004D68: D9FE0200 0C0000D6
	v_mfma_scale_f32_16x16x128_f8f6f4 a[116:119], v[192:195], v[52:55], a[116:119], v211, v202 op_sel_hi:[0,0,0] cbsz:4 blgp:4// 000000004D70: D3AC7000 180395D3 D3AD8C74 85D269C0
	buffer_load_dwordx4 v[112:115], v222, s[16:19], 0 offen offset:1024// 000000004D80: E05C1400 800470DE
	v_mfma_scale_f32_16x16x128_f8f6f4 a[120:123], v[196:199], v[48:51], a[120:123], v211, v202 op_sel_hi:[0,0,0] cbsz:4 blgp:4// 000000004D88: D3AC6800 180395D3 D3AD8C78 85E261C4
	ds_read_b128 v[20:23], v214 offset:576                     // 000000004D98: D9FE0240 140000D6
	v_mfma_scale_f32_16x16x128_f8f6f4 a[124:127], v[196:199], v[52:55], a[124:127], v211, v202 op_sel_hi:[0,0,0] cbsz:4 blgp:4// 000000004DA0: D3AC7800 180395D3 D3AD8C7C 85F269C4
	buffer_load_dwordx4 v[116:119], v223, s[16:19], 0 offen offset:1024// 000000004DB0: E05C1400 800474DF
	ds_read_b32 v200, v217                                     // 000000004DB8: D86C0000 C80000D9
	v_mfma_scale_f32_16x16x128_f8f6f4 a[240:243], v[184:187], v[56:59], a[240:243], v211, v203 op_sel_hi:[0,0,0] cbsz:4 blgp:4// 000000004DC0: D3AC6000 000397D3 D3AD8CF0 87C271B8
	ds_read_b128 v[24:27], v214 offset:4224                    // 000000004DD0: D9FE1080 180000D6
	v_mfma_scale_f32_16x16x128_f8f6f4 a[244:247], v[184:187], v[60:63], a[244:247], v211, v203 op_sel_hi:[0,0,0] cbsz:4 blgp:4// 000000004DD8: D3AC7000 000397D3 D3AD8CF4 87D279B8
	buffer_load_dword v206, v236, s[24:27], 0 offen            // 000000004DE8: E0501000 8006CEEC
	v_mfma_scale_f32_16x16x128_f8f6f4 a[248:251], v[188:191], v[56:59], a[248:251], v211, v203 op_sel_hi:[0,0,0] cbsz:4 blgp:4// 000000004DF0: D3AC6800 000397D3 D3AD8CF8 87E271BC
	ds_read_b128 v[32:35], v214 offset:4288                    // 000000004E00: D9FE10C0 200000D6
	v_mfma_scale_f32_16x16x128_f8f6f4 a[252:255], v[188:191], v[60:63], a[252:255], v211, v203 op_sel_hi:[0,0,0] cbsz:4 blgp:4// 000000004E08: D3AC7800 000397D3 D3AD8CFC 87F279BC
	v_mfma_scale_f32_16x16x128_f8f6f4 a[240:243], v[192:195], v[64:67], a[240:243], v211, v203 op_sel_hi:[0,0,0] cbsz:4 blgp:4// 000000004E18: D3AC6000 180397D3 D3AD8CF0 87C281C0
	ds_read_b128 v[28:31], v214 offset:4736                    // 000000004E28: D9FE1280 1C0000D6
	v_mfma_scale_f32_16x16x128_f8f6f4 a[244:247], v[192:195], v[68:71], a[244:247], v211, v203 op_sel_hi:[0,0,0] cbsz:4 blgp:4// 000000004E30: D3AC7000 180397D3 D3AD8CF4 87D289C0
	v_mfma_scale_f32_16x16x128_f8f6f4 a[248:251], v[196:199], v[64:67], a[248:251], v211, v203 op_sel_hi:[0,0,0] cbsz:4 blgp:4// 000000004E40: D3AC6800 180397D3 D3AD8CF8 87E281C4
	ds_read_b128 v[36:39], v214 offset:4800                    // 000000004E50: D9FE12C0 240000D6
	v_mfma_scale_f32_16x16x128_f8f6f4 a[252:255], v[196:199], v[68:71], a[252:255], v211, v203 op_sel_hi:[0,0,0] cbsz:4 blgp:4// 000000004E58: D3AC7800 180397D3 D3AD8CFC 87F289C4
	ds_read_b32 v201, v217 offset:256                          // 000000004E68: D86C0100 C90000D9
	s_cbranch_scc0 label_0DC3                                  // 000000004E70: BF840526
	s_branch label_0379                                        // 000000004E74: BF82FADB

0000000000004e78 <label_089E>:
	s_waitcnt vmcnt(10) lgkmcnt(5)                             // 000000004E78: BF8C057A
	v_mfma_scale_f32_16x16x128_f8f6f4 a[0:3], v[72:75], v[8:11], a[0:3], v204, v200 op_sel_hi:[0,0,0] cbsz:4 blgp:4// 000000004E7C: D3AC6000 000391CC D3AD8C00 84021148
	buffer_load_dwordx4 v[120:123], v224, s[16:19], 0 offen    // 000000004E8C: E05C1000 800478E0
	v_mfma_scale_f32_16x16x128_f8f6f4 a[4:7], v[72:75], v[12:15], a[4:7], v204, v200 op_sel_hi:[0,0,0] cbsz:4 blgp:4// 000000004E94: D3AC7000 000391CC D3AD8C04 84121948
	v_mfma_scale_f32_16x16x128_f8f6f4 a[8:11], v[76:79], v[8:11], a[8:11], v204, v200 op_sel_hi:[0,0,0] cbsz:4 blgp:4// 000000004EA4: D3AC6800 000391CC D3AD8C08 8422114C
	buffer_load_dwordx4 v[124:127], v225, s[16:19], 0 offen    // 000000004EB4: E05C1000 80047CE1
	v_mfma_scale_f32_16x16x128_f8f6f4 a[12:15], v[76:79], v[12:15], a[12:15], v204, v200 op_sel_hi:[0,0,0] cbsz:4 blgp:4// 000000004EBC: D3AC7800 000391CC D3AD8C0C 8432194C
	v_mfma_scale_f32_16x16x128_f8f6f4 a[0:3], v[80:83], v[16:19], a[0:3], v204, v200 op_sel_hi:[0,0,0] cbsz:4 blgp:4// 000000004ECC: D3AC6000 180391CC D3AD8C00 84022150
	buffer_load_dwordx4 v[128:131], v224, s[16:19], 0 offen offset:1024// 000000004EDC: E05C1400 800480E0
	v_mfma_scale_f32_16x16x128_f8f6f4 a[4:7], v[80:83], v[20:23], a[4:7], v204, v200 op_sel_hi:[0,0,0] cbsz:4 blgp:4// 000000004EE4: D3AC7000 180391CC D3AD8C04 84122950
	v_mfma_scale_f32_16x16x128_f8f6f4 a[8:11], v[84:87], v[16:19], a[8:11], v204, v200 op_sel_hi:[0,0,0] cbsz:4 blgp:4// 000000004EF4: D3AC6800 180391CC D3AD8C08 84222154
	buffer_load_dwordx4 v[132:135], v225, s[16:19], 0 offen offset:1024// 000000004F04: E05C1400 800484E1
	v_mfma_scale_f32_16x16x128_f8f6f4 a[12:15], v[84:87], v[20:23], a[12:15], v204, v200 op_sel_hi:[0,0,0] cbsz:4 blgp:4// 000000004F0C: D3AC7800 180391CC D3AD8C0C 84322954
	s_waitcnt lgkmcnt(0)                                       // 000000004F1C: BF8CC07F
	v_mfma_scale_f32_16x16x128_f8f6f4 a[128:131], v[72:75], v[24:27], a[128:131], v204, v201 op_sel_hi:[0,0,0] cbsz:4 blgp:4// 000000004F20: D3AC6000 000393CC D3AD8C80 86023148
	buffer_load_dword v207, v237, s[24:27], 0 offen            // 000000004F30: E0501000 8006CFED
	v_mfma_scale_f32_16x16x128_f8f6f4 a[132:135], v[72:75], v[28:31], a[132:135], v204, v201 op_sel_hi:[0,0,0] cbsz:4 blgp:4// 000000004F38: D3AC7000 000393CC D3AD8C84 86123948
	v_mfma_scale_f32_16x16x128_f8f6f4 a[136:139], v[76:79], v[24:27], a[136:139], v204, v201 op_sel_hi:[0,0,0] cbsz:4 blgp:4// 000000004F48: D3AC6800 000393CC D3AD8C88 8622314C
	v_mfma_scale_f32_16x16x128_f8f6f4 a[140:143], v[76:79], v[28:31], a[140:143], v204, v201 op_sel_hi:[0,0,0] cbsz:4 blgp:4// 000000004F58: D3AC7800 000393CC D3AD8C8C 8632394C
	v_mfma_scale_f32_16x16x128_f8f6f4 a[128:131], v[80:83], v[32:35], a[128:131], v204, v201 op_sel_hi:[0,0,0] cbsz:4 blgp:4// 000000004F68: D3AC6000 180393CC D3AD8C80 86024150
	v_mfma_scale_f32_16x16x128_f8f6f4 a[132:135], v[80:83], v[36:39], a[132:135], v204, v201 op_sel_hi:[0,0,0] cbsz:4 blgp:4// 000000004F78: D3AC7000 180393CC D3AD8C84 86124950
	v_mfma_scale_f32_16x16x128_f8f6f4 a[136:139], v[84:87], v[32:35], a[136:139], v204, v201 op_sel_hi:[0,0,0] cbsz:4 blgp:4// 000000004F88: D3AC6800 180393CC D3AD8C88 86224154
	v_mfma_scale_f32_16x16x128_f8f6f4 a[140:143], v[84:87], v[36:39], a[140:143], v204, v201 op_sel_hi:[0,0,0] cbsz:4 blgp:4// 000000004F98: D3AC7800 180393CC D3AD8C8C 86324954
	s_waitcnt vmcnt(10)                                        // 000000004FA8: BF8C0F7A
	v_mfma_scale_f32_16x16x128_f8f6f4 a[16:19], v[88:91], v[8:11], a[16:19], v205, v200 op_sel_hi:[0,0,0] cbsz:4 blgp:4// 000000004FAC: D3AC6000 000391CD D3AD8C10 84421158
	buffer_load_dwordx4 v[136:139], v226, s[16:19], 0 offen    // 000000004FBC: E05C1000 800488E2
	v_mfma_scale_f32_16x16x128_f8f6f4 a[20:23], v[88:91], v[12:15], a[20:23], v205, v200 op_sel_hi:[0,0,0] cbsz:4 blgp:4// 000000004FC4: D3AC7000 000391CD D3AD8C14 84521958
	v_mfma_scale_f32_16x16x128_f8f6f4 a[24:27], v[92:95], v[8:11], a[24:27], v205, v200 op_sel_hi:[0,0,0] cbsz:4 blgp:4// 000000004FD4: D3AC6800 000391CD D3AD8C18 8462115C
	buffer_load_dwordx4 v[140:143], v227, s[16:19], 0 offen    // 000000004FE4: E05C1000 80048CE3
	v_mfma_scale_f32_16x16x128_f8f6f4 a[28:31], v[92:95], v[12:15], a[28:31], v205, v200 op_sel_hi:[0,0,0] cbsz:4 blgp:4// 000000004FEC: D3AC7800 000391CD D3AD8C1C 8472195C
	v_mfma_scale_f32_16x16x128_f8f6f4 a[16:19], v[96:99], v[16:19], a[16:19], v205, v200 op_sel_hi:[0,0,0] cbsz:4 blgp:4// 000000004FFC: D3AC6000 180391CD D3AD8C10 84422160
	buffer_load_dwordx4 v[144:147], v226, s[16:19], 0 offen offset:1024// 00000000500C: E05C1400 800490E2
	v_mfma_scale_f32_16x16x128_f8f6f4 a[20:23], v[96:99], v[20:23], a[20:23], v205, v200 op_sel_hi:[0,0,0] cbsz:4 blgp:4// 000000005014: D3AC7000 180391CD D3AD8C14 84522960
	v_mfma_scale_f32_16x16x128_f8f6f4 a[24:27], v[100:103], v[16:19], a[24:27], v205, v200 op_sel_hi:[0,0,0] cbsz:4 blgp:4// 000000005024: D3AC6800 180391CD D3AD8C18 84622164
	buffer_load_dwordx4 v[148:151], v227, s[16:19], 0 offen offset:1024// 000000005034: E05C1400 800494E3
	v_mfma_scale_f32_16x16x128_f8f6f4 a[28:31], v[100:103], v[20:23], a[28:31], v205, v200 op_sel_hi:[0,0,0] cbsz:4 blgp:4// 00000000503C: D3AC7800 180391CD D3AD8C1C 84722964
	v_mfma_scale_f32_16x16x128_f8f6f4 a[144:147], v[88:91], v[24:27], a[144:147], v205, v201 op_sel_hi:[0,0,0] cbsz:4 blgp:4// 00000000504C: D3AC6000 000393CD D3AD8C90 86423158
	buffer_load_dword v208, v238, s[24:27], 0 offen            // 00000000505C: E0501000 8006D0EE
	v_mfma_scale_f32_16x16x128_f8f6f4 a[148:151], v[88:91], v[28:31], a[148:151], v205, v201 op_sel_hi:[0,0,0] cbsz:4 blgp:4// 000000005064: D3AC7000 000393CD D3AD8C94 86523958
	v_mfma_scale_f32_16x16x128_f8f6f4 a[152:155], v[92:95], v[24:27], a[152:155], v205, v201 op_sel_hi:[0,0,0] cbsz:4 blgp:4// 000000005074: D3AC6800 000393CD D3AD8C98 8662315C
	v_mfma_scale_f32_16x16x128_f8f6f4 a[156:159], v[92:95], v[28:31], a[156:159], v205, v201 op_sel_hi:[0,0,0] cbsz:4 blgp:4// 000000005084: D3AC7800 000393CD D3AD8C9C 8672395C
	v_mfma_scale_f32_16x16x128_f8f6f4 a[144:147], v[96:99], v[32:35], a[144:147], v205, v201 op_sel_hi:[0,0,0] cbsz:4 blgp:4// 000000005094: D3AC6000 180393CD D3AD8C90 86424160
	v_mfma_scale_f32_16x16x128_f8f6f4 a[148:151], v[96:99], v[36:39], a[148:151], v205, v201 op_sel_hi:[0,0,0] cbsz:4 blgp:4// 0000000050A4: D3AC7000 180393CD D3AD8C94 86524960
	v_mfma_scale_f32_16x16x128_f8f6f4 a[152:155], v[100:103], v[32:35], a[152:155], v205, v201 op_sel_hi:[0,0,0] cbsz:4 blgp:4// 0000000050B4: D3AC6800 180393CD D3AD8C98 86624164
	v_mfma_scale_f32_16x16x128_f8f6f4 a[156:159], v[100:103], v[36:39], a[156:159], v205, v201 op_sel_hi:[0,0,0] cbsz:4 blgp:4// 0000000050C4: D3AC7800 180393CD D3AD8C9C 86724964
	s_waitcnt vmcnt(10)                                        // 0000000050D4: BF8C0F7A
	v_mfma_scale_f32_16x16x128_f8f6f4 a[32:35], v[104:107], v[8:11], a[32:35], v206, v200 op_sel_hi:[0,0,0] cbsz:4 blgp:4// 0000000050D8: D3AC6000 000391CE D3AD8C20 84821168
	buffer_load_dwordx4 v[152:155], v228, s[16:19], 0 offen    // 0000000050E8: E05C1000 800498E4
	v_mfma_scale_f32_16x16x128_f8f6f4 a[36:39], v[104:107], v[12:15], a[36:39], v206, v200 op_sel_hi:[0,0,0] cbsz:4 blgp:4// 0000000050F0: D3AC7000 000391CE D3AD8C24 84921968
	v_mfma_scale_f32_16x16x128_f8f6f4 a[40:43], v[108:111], v[8:11], a[40:43], v206, v200 op_sel_hi:[0,0,0] cbsz:4 blgp:4// 000000005100: D3AC6800 000391CE D3AD8C28 84A2116C
	buffer_load_dwordx4 v[156:159], v229, s[16:19], 0 offen    // 000000005110: E05C1000 80049CE5
	v_mfma_scale_f32_16x16x128_f8f6f4 a[44:47], v[108:111], v[12:15], a[44:47], v206, v200 op_sel_hi:[0,0,0] cbsz:4 blgp:4// 000000005118: D3AC7800 000391CE D3AD8C2C 84B2196C
	v_mfma_scale_f32_16x16x128_f8f6f4 a[32:35], v[112:115], v[16:19], a[32:35], v206, v200 op_sel_hi:[0,0,0] cbsz:4 blgp:4// 000000005128: D3AC6000 180391CE D3AD8C20 84822170
	buffer_load_dwordx4 v[160:163], v228, s[16:19], 0 offen offset:1024// 000000005138: E05C1400 8004A0E4
	v_mfma_scale_f32_16x16x128_f8f6f4 a[36:39], v[112:115], v[20:23], a[36:39], v206, v200 op_sel_hi:[0,0,0] cbsz:4 blgp:4// 000000005140: D3AC7000 180391CE D3AD8C24 84922970
	v_mfma_scale_f32_16x16x128_f8f6f4 a[40:43], v[116:119], v[16:19], a[40:43], v206, v200 op_sel_hi:[0,0,0] cbsz:4 blgp:4// 000000005150: D3AC6800 180391CE D3AD8C28 84A22174
	buffer_load_dwordx4 v[164:167], v229, s[16:19], 0 offen offset:1024// 000000005160: E05C1400 8004A4E5
	v_mfma_scale_f32_16x16x128_f8f6f4 a[44:47], v[116:119], v[20:23], a[44:47], v206, v200 op_sel_hi:[0,0,0] cbsz:4 blgp:4// 000000005168: D3AC7800 180391CE D3AD8C2C 84B22974
	v_mfma_scale_f32_16x16x128_f8f6f4 a[160:163], v[104:107], v[24:27], a[160:163], v206, v201 op_sel_hi:[0,0,0] cbsz:4 blgp:4// 000000005178: D3AC6000 000393CE D3AD8CA0 86823168
	buffer_load_dword v209, v239, s[24:27], 0 offen            // 000000005188: E0501000 8006D1EF
	v_mfma_scale_f32_16x16x128_f8f6f4 a[164:167], v[104:107], v[28:31], a[164:167], v206, v201 op_sel_hi:[0,0,0] cbsz:4 blgp:4// 000000005190: D3AC7000 000393CE D3AD8CA4 86923968
	v_mfma_scale_f32_16x16x128_f8f6f4 a[168:171], v[108:111], v[24:27], a[168:171], v206, v201 op_sel_hi:[0,0,0] cbsz:4 blgp:4// 0000000051A0: D3AC6800 000393CE D3AD8CA8 86A2316C
	v_mfma_scale_f32_16x16x128_f8f6f4 a[172:175], v[108:111], v[28:31], a[172:175], v206, v201 op_sel_hi:[0,0,0] cbsz:4 blgp:4// 0000000051B0: D3AC7800 000393CE D3AD8CAC 86B2396C
	v_mfma_scale_f32_16x16x128_f8f6f4 a[160:163], v[112:115], v[32:35], a[160:163], v206, v201 op_sel_hi:[0,0,0] cbsz:4 blgp:4// 0000000051C0: D3AC6000 180393CE D3AD8CA0 86824170
	v_mfma_scale_f32_16x16x128_f8f6f4 a[164:167], v[112:115], v[36:39], a[164:167], v206, v201 op_sel_hi:[0,0,0] cbsz:4 blgp:4// 0000000051D0: D3AC7000 180393CE D3AD8CA4 86924970
	v_mfma_scale_f32_16x16x128_f8f6f4 a[168:171], v[116:119], v[32:35], a[168:171], v206, v201 op_sel_hi:[0,0,0] cbsz:4 blgp:4// 0000000051E0: D3AC6800 180393CE D3AD8CA8 86A24174
	v_mfma_scale_f32_16x16x128_f8f6f4 a[172:175], v[116:119], v[36:39], a[172:175], v206, v201 op_sel_hi:[0,0,0] cbsz:4 blgp:4// 0000000051F0: D3AC7800 180393CE D3AD8CAC 86B24974
	s_waitcnt vmcnt(10)                                        // 000000005200: BF8C0F7A
	v_mfma_scale_f32_16x16x128_f8f6f4 a[48:51], v[120:123], v[8:11], a[48:51], v207, v200 op_sel_hi:[0,0,0] cbsz:4 blgp:4// 000000005204: D3AC6000 000391CF D3AD8C30 84C21178
	buffer_load_dwordx4 v[168:171], v230, s[16:19], 0 offen    // 000000005214: E05C1000 8004A8E6
	v_mfma_scale_f32_16x16x128_f8f6f4 a[52:55], v[120:123], v[12:15], a[52:55], v207, v200 op_sel_hi:[0,0,0] cbsz:4 blgp:4// 00000000521C: D3AC7000 000391CF D3AD8C34 84D21978
	v_mfma_scale_f32_16x16x128_f8f6f4 a[56:59], v[124:127], v[8:11], a[56:59], v207, v200 op_sel_hi:[0,0,0] cbsz:4 blgp:4// 00000000522C: D3AC6800 000391CF D3AD8C38 84E2117C
	buffer_load_dwordx4 v[172:175], v231, s[16:19], 0 offen    // 00000000523C: E05C1000 8004ACE7
	v_mfma_scale_f32_16x16x128_f8f6f4 a[60:63], v[124:127], v[12:15], a[60:63], v207, v200 op_sel_hi:[0,0,0] cbsz:4 blgp:4// 000000005244: D3AC7800 000391CF D3AD8C3C 84F2197C
	v_mfma_scale_f32_16x16x128_f8f6f4 a[48:51], v[128:131], v[16:19], a[48:51], v207, v200 op_sel_hi:[0,0,0] cbsz:4 blgp:4// 000000005254: D3AC6000 180391CF D3AD8C30 84C22180
	buffer_load_dwordx4 v[176:179], v230, s[16:19], 0 offen offset:1024// 000000005264: E05C1400 8004B0E6
	v_mfma_scale_f32_16x16x128_f8f6f4 a[52:55], v[128:131], v[20:23], a[52:55], v207, v200 op_sel_hi:[0,0,0] cbsz:4 blgp:4// 00000000526C: D3AC7000 180391CF D3AD8C34 84D22980
	v_mfma_scale_f32_16x16x128_f8f6f4 a[56:59], v[132:135], v[16:19], a[56:59], v207, v200 op_sel_hi:[0,0,0] cbsz:4 blgp:4// 00000000527C: D3AC6800 180391CF D3AD8C38 84E22184
	buffer_load_dwordx4 v[180:183], v231, s[16:19], 0 offen offset:1024// 00000000528C: E05C1400 8004B4E7
	v_mfma_scale_f32_16x16x128_f8f6f4 a[60:63], v[132:135], v[20:23], a[60:63], v207, v200 op_sel_hi:[0,0,0] cbsz:4 blgp:4// 000000005294: D3AC7800 180391CF D3AD8C3C 84F22984
	v_mfma_scale_f32_16x16x128_f8f6f4 a[176:179], v[120:123], v[24:27], a[176:179], v207, v201 op_sel_hi:[0,0,0] cbsz:4 blgp:4// 0000000052A4: D3AC6000 000393CF D3AD8CB0 86C23178
	buffer_load_dword v210, v240, s[24:27], 0 offen            // 0000000052B4: E0501000 8006D2F0
	v_mfma_scale_f32_16x16x128_f8f6f4 a[180:183], v[120:123], v[28:31], a[180:183], v207, v201 op_sel_hi:[0,0,0] cbsz:4 blgp:4// 0000000052BC: D3AC7000 000393CF D3AD8CB4 86D23978
	v_mfma_scale_f32_16x16x128_f8f6f4 a[184:187], v[124:127], v[24:27], a[184:187], v207, v201 op_sel_hi:[0,0,0] cbsz:4 blgp:4// 0000000052CC: D3AC6800 000393CF D3AD8CB8 86E2317C
	v_mfma_scale_f32_16x16x128_f8f6f4 a[188:191], v[124:127], v[28:31], a[188:191], v207, v201 op_sel_hi:[0,0,0] cbsz:4 blgp:4// 0000000052DC: D3AC7800 000393CF D3AD8CBC 86F2397C
	v_mfma_scale_f32_16x16x128_f8f6f4 a[176:179], v[128:131], v[32:35], a[176:179], v207, v201 op_sel_hi:[0,0,0] cbsz:4 blgp:4// 0000000052EC: D3AC6000 180393CF D3AD8CB0 86C24180
	v_mfma_scale_f32_16x16x128_f8f6f4 a[180:183], v[128:131], v[36:39], a[180:183], v207, v201 op_sel_hi:[0,0,0] cbsz:4 blgp:4// 0000000052FC: D3AC7000 180393CF D3AD8CB4 86D24980
	v_mfma_scale_f32_16x16x128_f8f6f4 a[184:187], v[132:135], v[32:35], a[184:187], v207, v201 op_sel_hi:[0,0,0] cbsz:4 blgp:4// 00000000530C: D3AC6800 180393CF D3AD8CB8 86E24184
	v_mfma_scale_f32_16x16x128_f8f6f4 a[188:191], v[132:135], v[36:39], a[188:191], v207, v201 op_sel_hi:[0,0,0] cbsz:4 blgp:4// 00000000531C: D3AC7800 180393CF D3AD8CBC 86F24984
	s_waitcnt vmcnt(10)                                        // 00000000532C: BF8C0F7A
	v_mfma_scale_f32_16x16x128_f8f6f4 a[64:67], v[136:139], v[8:11], a[64:67], v208, v200 op_sel_hi:[0,0,0] cbsz:4 blgp:4// 000000005330: D3AC6000 000391D0 D3AD8C40 85021188
	s_add_u32 s63, 0x100, s60                                  // 000000005340: 803F3CFF 00000100
	buffer_load_dwordx4 v[184:187], v232, s[16:19], 0 offen    // 000000005348: E05C1000 8004B8E8
	v_mfma_scale_f32_16x16x128_f8f6f4 a[68:71], v[136:139], v[12:15], a[68:71], v208, v200 op_sel_hi:[0,0,0] cbsz:4 blgp:4// 000000005350: D3AC7000 000391D0 D3AD8C44 85121988
	s_cmp_lt_u32 s63, s61                                      // 000000005360: BF0A3D3F
	s_cselect_b32 s67, s67, 0                                  // 000000005364: 85438043
	v_mfma_scale_f32_16x16x128_f8f6f4 a[72:75], v[140:143], v[8:11], a[72:75], v208, v200 op_sel_hi:[0,0,0] cbsz:4 blgp:4// 000000005368: D3AC6800 000391D0 D3AD8C48 8522118C
	s_cselect_b32 s69, s69, 0                                  // 000000005378: 85458045
	buffer_load_dwordx4 v[188:191], v233, s[16:19], 0 offen    // 00000000537C: E05C1000 8004BCE9
	v_mfma_scale_f32_16x16x128_f8f6f4 a[76:79], v[140:143], v[12:15], a[76:79], v208, v200 op_sel_hi:[0,0,0] cbsz:4 blgp:4// 000000005384: D3AC7800 000391D0 D3AD8C4C 8532198C
	v_mfma_scale_f32_16x16x128_f8f6f4 a[64:67], v[144:147], v[16:19], a[64:67], v208, v200 op_sel_hi:[0,0,0] cbsz:4 blgp:4// 000000005394: D3AC6000 180391D0 D3AD8C40 85022190
	buffer_load_dwordx4 v[192:195], v232, s[16:19], 0 offen offset:1024// 0000000053A4: E05C1400 8004C0E8
	v_mfma_scale_f32_16x16x128_f8f6f4 a[68:71], v[144:147], v[20:23], a[68:71], v208, v200 op_sel_hi:[0,0,0] cbsz:4 blgp:4// 0000000053AC: D3AC7000 180391D0 D3AD8C44 85122990
	v_mfma_scale_f32_16x16x128_f8f6f4 a[72:75], v[148:151], v[16:19], a[72:75], v208, v200 op_sel_hi:[0,0,0] cbsz:4 blgp:4// 0000000053BC: D3AC6800 180391D0 D3AD8C48 85222194
	buffer_load_dwordx4 v[196:199], v233, s[16:19], 0 offen offset:1024// 0000000053CC: E05C1400 8004C4E9
	v_mfma_scale_f32_16x16x128_f8f6f4 a[76:79], v[148:151], v[20:23], a[76:79], v208, v200 op_sel_hi:[0,0,0] cbsz:4 blgp:4// 0000000053D4: D3AC7800 180391D0 D3AD8C4C 85322994
	v_mfma_scale_f32_16x16x128_f8f6f4 a[192:195], v[136:139], v[24:27], a[192:195], v208, v201 op_sel_hi:[0,0,0] cbsz:4 blgp:4// 0000000053E4: D3AC6000 000393D0 D3AD8CC0 87023188
	buffer_load_dword v211, v241, s[24:27], 0 offen            // 0000000053F4: E0501000 8006D3F1
	v_mfma_scale_f32_16x16x128_f8f6f4 a[196:199], v[136:139], v[28:31], a[196:199], v208, v201 op_sel_hi:[0,0,0] cbsz:4 blgp:4// 0000000053FC: D3AC7000 000393D0 D3AD8CC4 87123988
	s_add_u32 s16, s16, s67                                    // 00000000540C: 80104310
	s_addc_u32 s17, 0, s17                                     // 000000005410: 82111180
	v_mfma_scale_f32_16x16x128_f8f6f4 a[200:203], v[140:143], v[24:27], a[200:203], v208, v201 op_sel_hi:[0,0,0] cbsz:4 blgp:4// 000000005414: D3AC6800 000393D0 D3AD8CC8 8722318C
	s_sub_u32 s18, s18, s67                                    // 000000005424: 80924312
	s_add_u32 s24, s24, s69                                    // 000000005428: 80184518
	v_mfma_scale_f32_16x16x128_f8f6f4 a[204:207], v[140:143], v[28:31], a[204:207], v208, v201 op_sel_hi:[0,0,0] cbsz:4 blgp:4// 00000000542C: D3AC7800 000393D0 D3AD8CCC 8732398C
	s_addc_u32 s25, 0, s25                                     // 00000000543C: 82191980
	s_sub_u32 s26, s26, s69                                    // 000000005440: 809A451A
	v_mfma_scale_f32_16x16x128_f8f6f4 a[192:195], v[144:147], v[32:35], a[192:195], v208, v201 op_sel_hi:[0,0,0] cbsz:4 blgp:4// 000000005444: D3AC6000 180393D0 D3AD8CC0 87024190
	s_add_u32 m0, 0x400, s65                                   // 000000005454: 807C41FF 00000400
	buffer_load_dword v216, s[20:23], 0 offen lds              // 00000000545C: E0511000 800500D8
	v_mfma_scale_f32_16x16x128_f8f6f4 a[196:199], v[144:147], v[36:39], a[196:199], v208, v201 op_sel_hi:[0,0,0] cbsz:4 blgp:4// 000000005464: D3AC7000 180393D0 D3AD8CC4 87124990
	v_mfma_scale_f32_16x16x128_f8f6f4 a[200:203], v[148:151], v[32:35], a[200:203], v208, v201 op_sel_hi:[0,0,0] cbsz:4 blgp:4// 000000005474: D3AC6800 180393D0 D3AD8CC8 87224194
	v_mfma_scale_f32_16x16x128_f8f6f4 a[204:207], v[148:151], v[36:39], a[204:207], v208, v201 op_sel_hi:[0,0,0] cbsz:4 blgp:4// 000000005484: D3AC7800 180393D0 D3AD8CCC 87324994
	s_waitcnt vmcnt(11)                                        // 000000005494: BF8C0F7B
	v_mfma_scale_f32_16x16x128_f8f6f4 a[80:83], v[152:155], v[8:11], a[80:83], v209, v200 op_sel_hi:[0,0,0] cbsz:4 blgp:4// 000000005498: D3AC6000 000391D1 D3AD8C50 85421198
	s_add_u32 m0, 0x2100, s64                                  // 0000000054A8: 807C40FF 00002100
	buffer_load_dwordx4 v212, s[12:15], 0 offen lds            // 0000000054B0: E05D1000 800300D4
	v_mfma_scale_f32_16x16x128_f8f6f4 a[84:87], v[152:155], v[12:15], a[84:87], v209, v200 op_sel_hi:[0,0,0] cbsz:4 blgp:4// 0000000054B8: D3AC7000 000391D1 D3AD8C54 85521998
	v_mfma_scale_f32_16x16x128_f8f6f4 a[88:91], v[156:159], v[8:11], a[88:91], v209, v200 op_sel_hi:[0,0,0] cbsz:4 blgp:4// 0000000054C8: D3AC6800 000391D1 D3AD8C58 8562119C
	s_add_u32 m0, 0x3180, s64                                  // 0000000054D8: 807C40FF 00003180
	buffer_load_dwordx4 v213, s[12:15], 0 offen lds            // 0000000054E0: E05D1000 800300D5
	v_mfma_scale_f32_16x16x128_f8f6f4 a[92:95], v[156:159], v[12:15], a[92:95], v209, v200 op_sel_hi:[0,0,0] cbsz:4 blgp:4// 0000000054E8: D3AC7800 000391D1 D3AD8C5C 8572199C
	s_add_u32 s62, 0x200, s60                                  // 0000000054F8: 803E3CFF 00000200
	s_cmp_lt_u32 s62, s61                                      // 000000005500: BF0A3D3E
	v_mfma_scale_f32_16x16x128_f8f6f4 a[80:83], v[160:163], v[16:19], a[80:83], v209, v200 op_sel_hi:[0,0,0] cbsz:4 blgp:4// 000000005504: D3AC6000 180391D1 D3AD8C50 854221A0
	s_cselect_b32 s66, s66, 0                                  // 000000005514: 85428042
	buffer_load_dwordx4 v[72:75], v218, s[16:19], 0 offen      // 000000005518: E05C1000 800448DA
	v_mfma_scale_f32_16x16x128_f8f6f4 a[84:87], v[160:163], v[20:23], a[84:87], v209, v200 op_sel_hi:[0,0,0] cbsz:4 blgp:4// 000000005520: D3AC7000 180391D1 D3AD8C54 855229A0
	s_cselect_b32 s68, s68, 0                                  // 000000005530: 85448044
	s_add_u32 s12, s12, s66                                    // 000000005534: 800C420C
	v_mfma_scale_f32_16x16x128_f8f6f4 a[88:91], v[164:167], v[16:19], a[88:91], v209, v200 op_sel_hi:[0,0,0] cbsz:4 blgp:4// 000000005538: D3AC6800 180391D1 D3AD8C58 856221A4
	s_addc_u32 s13, 0, s13                                     // 000000005548: 820D0D80
	buffer_load_dwordx4 v[76:79], v219, s[16:19], 0 offen      // 00000000554C: E05C1000 80044CDB
	v_mfma_scale_f32_16x16x128_f8f6f4 a[92:95], v[164:167], v[20:23], a[92:95], v209, v200 op_sel_hi:[0,0,0] cbsz:4 blgp:4// 000000005554: D3AC7800 180391D1 D3AD8C5C 857229A4
	s_sub_u32 s14, s14, s66                                    // 000000005564: 808E420E
	s_add_u32 s20, s20, s68                                    // 000000005568: 80144414
	v_mfma_scale_f32_16x16x128_f8f6f4 a[208:211], v[152:155], v[24:27], a[208:211], v209, v201 op_sel_hi:[0,0,0] cbsz:4 blgp:4// 00000000556C: D3AC6000 000393D1 D3AD8CD0 87423198
	s_addc_u32 s21, 0, s21                                     // 00000000557C: 82151580
	buffer_load_dwordx4 v[80:83], v218, s[16:19], 0 offen offset:1024// 000000005580: E05C1400 800450DA
	v_mfma_scale_f32_16x16x128_f8f6f4 a[212:215], v[152:155], v[28:31], a[212:215], v209, v201 op_sel_hi:[0,0,0] cbsz:4 blgp:4// 000000005588: D3AC7000 000393D1 D3AD8CD4 87523998
	s_sub_u32 s22, s22, s68                                    // 000000005598: 80964416
	v_mfma_scale_f32_16x16x128_f8f6f4 a[216:219], v[156:159], v[24:27], a[216:219], v209, v201 op_sel_hi:[0,0,0] cbsz:4 blgp:4// 00000000559C: D3AC6800 000393D1 D3AD8CD8 8762319C
	buffer_load_dwordx4 v[84:87], v219, s[16:19], 0 offen offset:1024// 0000000055AC: E05C1400 800454DB
	v_mfma_scale_f32_16x16x128_f8f6f4 a[220:223], v[156:159], v[28:31], a[220:223], v209, v201 op_sel_hi:[0,0,0] cbsz:4 blgp:4// 0000000055B4: D3AC7800 000393D1 D3AD8CDC 8772399C
	v_mfma_scale_f32_16x16x128_f8f6f4 a[208:211], v[160:163], v[32:35], a[208:211], v209, v201 op_sel_hi:[0,0,0] cbsz:4 blgp:4// 0000000055C4: D3AC6000 180393D1 D3AD8CD0 874241A0
	buffer_load_dword v204, v234, s[24:27], 0 offen            // 0000000055D4: E0501000 8006CCEA
	v_mfma_scale_f32_16x16x128_f8f6f4 a[212:215], v[160:163], v[36:39], a[212:215], v209, v201 op_sel_hi:[0,0,0] cbsz:4 blgp:4// 0000000055DC: D3AC7000 180393D1 D3AD8CD4 875249A0
	v_mfma_scale_f32_16x16x128_f8f6f4 a[216:219], v[164:167], v[32:35], a[216:219], v209, v201 op_sel_hi:[0,0,0] cbsz:4 blgp:4// 0000000055EC: D3AC6800 180393D1 D3AD8CD8 876241A4
	v_mfma_scale_f32_16x16x128_f8f6f4 a[220:223], v[164:167], v[36:39], a[220:223], v209, v201 op_sel_hi:[0,0,0] cbsz:4 blgp:4// 0000000055FC: D3AC7800 180393D1 D3AD8CDC 877249A4
	s_waitcnt vmcnt(13)                                        // 00000000560C: BF8C0F7D
	v_mfma_scale_f32_16x16x128_f8f6f4 a[96:99], v[168:171], v[8:11], a[96:99], v210, v200 op_sel_hi:[0,0,0] cbsz:4 blgp:4// 000000005610: D3AC6000 000391D2 D3AD8C60 858211A8
	buffer_load_dwordx4 v[88:91], v220, s[16:19], 0 offen      // 000000005620: E05C1000 800458DC
	v_mfma_scale_f32_16x16x128_f8f6f4 a[100:103], v[168:171], v[12:15], a[100:103], v210, v200 op_sel_hi:[0,0,0] cbsz:4 blgp:4// 000000005628: D3AC7000 000391D2 D3AD8C64 859219A8
	v_mfma_scale_f32_16x16x128_f8f6f4 a[104:107], v[172:175], v[8:11], a[104:107], v210, v200 op_sel_hi:[0,0,0] cbsz:4 blgp:4// 000000005638: D3AC6800 000391D2 D3AD8C68 85A211AC
	buffer_load_dwordx4 v[92:95], v221, s[16:19], 0 offen      // 000000005648: E05C1000 80045CDD
	v_mfma_scale_f32_16x16x128_f8f6f4 a[108:111], v[172:175], v[12:15], a[108:111], v210, v200 op_sel_hi:[0,0,0] cbsz:4 blgp:4// 000000005650: D3AC7800 000391D2 D3AD8C6C 85B219AC
	v_mfma_scale_f32_16x16x128_f8f6f4 a[96:99], v[176:179], v[16:19], a[96:99], v210, v200 op_sel_hi:[0,0,0] cbsz:4 blgp:4// 000000005660: D3AC6000 180391D2 D3AD8C60 858221B0
	buffer_load_dwordx4 v[96:99], v220, s[16:19], 0 offen offset:1024// 000000005670: E05C1400 800460DC
	v_mfma_scale_f32_16x16x128_f8f6f4 a[100:103], v[176:179], v[20:23], a[100:103], v210, v200 op_sel_hi:[0,0,0] cbsz:4 blgp:4// 000000005678: D3AC7000 180391D2 D3AD8C64 859229B0
	v_mfma_scale_f32_16x16x128_f8f6f4 a[104:107], v[180:183], v[16:19], a[104:107], v210, v200 op_sel_hi:[0,0,0] cbsz:4 blgp:4// 000000005688: D3AC6800 180391D2 D3AD8C68 85A221B4
	buffer_load_dwordx4 v[100:103], v221, s[16:19], 0 offen offset:1024// 000000005698: E05C1400 800464DD
	v_mfma_scale_f32_16x16x128_f8f6f4 a[108:111], v[180:183], v[20:23], a[108:111], v210, v200 op_sel_hi:[0,0,0] cbsz:4 blgp:4// 0000000056A0: D3AC7800 180391D2 D3AD8C6C 85B229B4
	v_mfma_scale_f32_16x16x128_f8f6f4 a[224:227], v[168:171], v[24:27], a[224:227], v210, v201 op_sel_hi:[0,0,0] cbsz:4 blgp:4// 0000000056B0: D3AC6000 000393D2 D3AD8CE0 878231A8
	buffer_load_dword v205, v235, s[24:27], 0 offen            // 0000000056C0: E0501000 8006CDEB
	v_mfma_scale_f32_16x16x128_f8f6f4 a[228:231], v[168:171], v[28:31], a[228:231], v210, v201 op_sel_hi:[0,0,0] cbsz:4 blgp:4// 0000000056C8: D3AC7000 000393D2 D3AD8CE4 879239A8
	v_mfma_scale_f32_16x16x128_f8f6f4 a[232:235], v[172:175], v[24:27], a[232:235], v210, v201 op_sel_hi:[0,0,0] cbsz:4 blgp:4// 0000000056D8: D3AC6800 000393D2 D3AD8CE8 87A231AC
	v_mfma_scale_f32_16x16x128_f8f6f4 a[236:239], v[172:175], v[28:31], a[236:239], v210, v201 op_sel_hi:[0,0,0] cbsz:4 blgp:4// 0000000056E8: D3AC7800 000393D2 D3AD8CEC 87B239AC
	v_mfma_scale_f32_16x16x128_f8f6f4 a[224:227], v[176:179], v[32:35], a[224:227], v210, v201 op_sel_hi:[0,0,0] cbsz:4 blgp:4// 0000000056F8: D3AC6000 180393D2 D3AD8CE0 878241B0
	v_mfma_scale_f32_16x16x128_f8f6f4 a[228:231], v[176:179], v[36:39], a[228:231], v210, v201 op_sel_hi:[0,0,0] cbsz:4 blgp:4// 000000005708: D3AC7000 180393D2 D3AD8CE4 879249B0
	v_mfma_scale_f32_16x16x128_f8f6f4 a[232:235], v[180:183], v[32:35], a[232:235], v210, v201 op_sel_hi:[0,0,0] cbsz:4 blgp:4// 000000005718: D3AC6800 180393D2 D3AD8CE8 87A241B4
	v_mfma_scale_f32_16x16x128_f8f6f4 a[236:239], v[180:183], v[36:39], a[236:239], v210, v201 op_sel_hi:[0,0,0] cbsz:4 blgp:4// 000000005728: D3AC7800 180393D2 D3AD8CEC 87B249B4
	s_waitcnt vmcnt(10)                                        // 000000005738: BF8C0F7A
	s_barrier                                                  // 00000000573C: BF8A0000
	v_mfma_scale_f32_16x16x128_f8f6f4 a[112:115], v[184:187], v[8:11], a[112:115], v211, v200 op_sel_hi:[0,0,0] cbsz:4 blgp:4// 000000005740: D3AC6000 000391D3 D3AD8C70 85C211B8
	s_addk_i32 s60, 0x100                                      // 000000005750: B73C0100
	buffer_load_dwordx4 v[104:107], v222, s[16:19], 0 offen    // 000000005754: E05C1000 800468DE
	v_mfma_scale_f32_16x16x128_f8f6f4 a[116:119], v[184:187], v[12:15], a[116:119], v211, v200 op_sel_hi:[0,0,0] cbsz:4 blgp:4// 00000000575C: D3AC7000 000391D3 D3AD8C74 85D219B8
	s_cmp_lt_i32 s60, s61                                      // 00000000576C: BF043D3C
	ds_read_b128 v[40:43], v215                                // 000000005770: D9FE0000 280000D7
	v_mfma_scale_f32_16x16x128_f8f6f4 a[120:123], v[188:191], v[8:11], a[120:123], v211, v200 op_sel_hi:[0,0,0] cbsz:4 blgp:4// 000000005778: D3AC6800 000391D3 D3AD8C78 85E211BC
	buffer_load_dwordx4 v[108:111], v223, s[16:19], 0 offen    // 000000005788: E05C1000 80046CDF
	v_mfma_scale_f32_16x16x128_f8f6f4 a[124:127], v[188:191], v[12:15], a[124:127], v211, v200 op_sel_hi:[0,0,0] cbsz:4 blgp:4// 000000005790: D3AC7800 000391D3 D3AD8C7C 85F219BC
	ds_read_b128 v[48:51], v215 offset:64                      // 0000000057A0: D9FE0040 300000D7
	v_mfma_scale_f32_16x16x128_f8f6f4 a[112:115], v[192:195], v[16:19], a[112:115], v211, v200 op_sel_hi:[0,0,0] cbsz:4 blgp:4// 0000000057A8: D3AC6000 180391D3 D3AD8C70 85C221C0
	buffer_load_dwordx4 v[112:115], v222, s[16:19], 0 offen offset:1024// 0000000057B8: E05C1400 800470DE
	v_mfma_scale_f32_16x16x128_f8f6f4 a[116:119], v[192:195], v[20:23], a[116:119], v211, v200 op_sel_hi:[0,0,0] cbsz:4 blgp:4// 0000000057C0: D3AC7000 180391D3 D3AD8C74 85D229C0
	ds_read_b128 v[44:47], v215 offset:512                     // 0000000057D0: D9FE0200 2C0000D7
	v_mfma_scale_f32_16x16x128_f8f6f4 a[120:123], v[196:199], v[16:19], a[120:123], v211, v200 op_sel_hi:[0,0,0] cbsz:4 blgp:4// 0000000057D8: D3AC6800 180391D3 D3AD8C78 85E221C4
	buffer_load_dwordx4 v[116:119], v223, s[16:19], 0 offen offset:1024// 0000000057E8: E05C1400 800474DF
	v_mfma_scale_f32_16x16x128_f8f6f4 a[124:127], v[196:199], v[20:23], a[124:127], v211, v200 op_sel_hi:[0,0,0] cbsz:4 blgp:4// 0000000057F0: D3AC7800 180391D3 D3AD8C7C 85F229C4
	ds_read_b128 v[52:55], v215 offset:576                     // 000000005800: D9FE0240 340000D7
	ds_read_b32 v202, v217 offset:1024                         // 000000005808: D86C0400 CA0000D9
	v_mfma_scale_f32_16x16x128_f8f6f4 a[240:243], v[184:187], v[24:27], a[240:243], v211, v201 op_sel_hi:[0,0,0] cbsz:4 blgp:4// 000000005810: D3AC6000 000393D3 D3AD8CF0 87C231B8
	buffer_load_dword v206, v236, s[24:27], 0 offen            // 000000005820: E0501000 8006CEEC
	v_mfma_scale_f32_16x16x128_f8f6f4 a[244:247], v[184:187], v[28:31], a[244:247], v211, v201 op_sel_hi:[0,0,0] cbsz:4 blgp:4// 000000005828: D3AC3000 000393D3 D3AD8CF4 87D239B8
	ds_read_b128 v[56:59], v215 offset:4224                    // 000000005838: D9FE1080 380000D7
	v_mfma_scale_f32_16x16x128_f8f6f4 a[248:251], v[188:191], v[24:27], a[248:251], v211, v201 op_sel_hi:[0,0,0] cbsz:4 blgp:4// 000000005840: D3AC6800 000393D3 D3AD8CF8 87E231BC
	v_mfma_scale_f32_16x16x128_f8f6f4 a[252:255], v[188:191], v[28:31], a[252:255], v211, v201 op_sel_hi:[0,0,0] cbsz:4 blgp:4// 000000005850: D3AC7800 000393D3 D3AD8CFC 87F239BC
	ds_read_b128 v[64:67], v215 offset:4288                    // 000000005860: D9FE10C0 400000D7
	v_mfma_scale_f32_16x16x128_f8f6f4 a[240:243], v[192:195], v[32:35], a[240:243], v211, v201 op_sel_hi:[0,0,0] cbsz:4 blgp:4// 000000005868: D3AC6000 180393D3 D3AD8CF0 87C241C0
	v_mfma_scale_f32_16x16x128_f8f6f4 a[244:247], v[192:195], v[36:39], a[244:247], v211, v201 op_sel_hi:[0,0,0] cbsz:4 blgp:4// 000000005878: D3AC7000 180393D3 D3AD8CF4 87D249C0
	ds_read_b128 v[60:63], v215 offset:4736                    // 000000005888: D9FE1280 3C0000D7
	v_mfma_scale_f32_16x16x128_f8f6f4 a[248:251], v[196:199], v[32:35], a[248:251], v211, v201 op_sel_hi:[0,0,0] cbsz:4 blgp:4// 000000005890: D3AC6800 180393D3 D3AD8CF8 87E241C4
	v_mfma_scale_f32_16x16x128_f8f6f4 a[252:255], v[196:199], v[36:39], a[252:255], v211, v201 op_sel_hi:[0,0,0] cbsz:4 blgp:4// 0000000058A0: D3AC7800 180393D3 D3AD8CFC 87F249C4
	ds_read_b128 v[68:71], v215 offset:4800                    // 0000000058B0: D9FE12C0 440000D7
	ds_read_b32 v203, v217 offset:1280                         // 0000000058B8: D86C0500 CB0000D9
	s_cbranch_scc0 label_0DC3                                  // 0000000058C0: BF840292
	s_waitcnt vmcnt(10) lgkmcnt(5)                             // 0000000058C4: BF8C057A
	v_mfma_scale_f32_16x16x128_f8f6f4 a[0:3], v[72:75], v[40:43], a[0:3], v204, v202 op_sel_hi:[0,0,0] cbsz:4 blgp:4// 0000000058C8: D3AC6000 000395CC D3AD8C00 84025148
	buffer_load_dwordx4 v[120:123], v224, s[16:19], 0 offen    // 0000000058D8: E05C1000 800478E0
	v_mfma_scale_f32_16x16x128_f8f6f4 a[4:7], v[72:75], v[44:47], a[4:7], v204, v202 op_sel_hi:[0,0,0] cbsz:4 blgp:4// 0000000058E0: D3AC7000 000395CC D3AD8C04 84125948
	v_mfma_scale_f32_16x16x128_f8f6f4 a[8:11], v[76:79], v[40:43], a[8:11], v204, v202 op_sel_hi:[0,0,0] cbsz:4 blgp:4// 0000000058F0: D3AC6800 000395CC D3AD8C08 8422514C
	buffer_load_dwordx4 v[124:127], v225, s[16:19], 0 offen    // 000000005900: E05C1000 80047CE1
	v_mfma_scale_f32_16x16x128_f8f6f4 a[12:15], v[76:79], v[44:47], a[12:15], v204, v202 op_sel_hi:[0,0,0] cbsz:4 blgp:4// 000000005908: D3AC7800 000395CC D3AD8C0C 8432594C
	v_mfma_scale_f32_16x16x128_f8f6f4 a[0:3], v[80:83], v[48:51], a[0:3], v204, v202 op_sel_hi:[0,0,0] cbsz:4 blgp:4// 000000005918: D3AC6000 180395CC D3AD8C00 84026150
	buffer_load_dwordx4 v[128:131], v224, s[16:19], 0 offen offset:1024// 000000005928: E05C1400 800480E0
	v_mfma_scale_f32_16x16x128_f8f6f4 a[4:7], v[80:83], v[52:55], a[4:7], v204, v202 op_sel_hi:[0,0,0] cbsz:4 blgp:4// 000000005930: D3AC7000 180395CC D3AD8C04 84126950
	v_mfma_scale_f32_16x16x128_f8f6f4 a[8:11], v[84:87], v[48:51], a[8:11], v204, v202 op_sel_hi:[0,0,0] cbsz:4 blgp:4// 000000005940: D3AC6800 180395CC D3AD8C08 84226154
	buffer_load_dwordx4 v[132:135], v225, s[16:19], 0 offen offset:1024// 000000005950: E05C1400 800484E1
	v_mfma_scale_f32_16x16x128_f8f6f4 a[12:15], v[84:87], v[52:55], a[12:15], v204, v202 op_sel_hi:[0,0,0] cbsz:4 blgp:4// 000000005958: D3AC7800 180395CC D3AD8C0C 84326954
	s_waitcnt lgkmcnt(0)                                       // 000000005968: BF8CC07F
	v_mfma_scale_f32_16x16x128_f8f6f4 a[128:131], v[72:75], v[56:59], a[128:131], v204, v203 op_sel_hi:[0,0,0] cbsz:4 blgp:4// 00000000596C: D3AC6000 000397CC D3AD8C80 86027148
	buffer_load_dword v207, v237, s[24:27], 0 offen            // 00000000597C: E0501000 8006CFED
	v_mfma_scale_f32_16x16x128_f8f6f4 a[132:135], v[72:75], v[60:63], a[132:135], v204, v203 op_sel_hi:[0,0,0] cbsz:4 blgp:4// 000000005984: D3AC7000 000397CC D3AD8C84 86127948
	v_mfma_scale_f32_16x16x128_f8f6f4 a[136:139], v[76:79], v[56:59], a[136:139], v204, v203 op_sel_hi:[0,0,0] cbsz:4 blgp:4// 000000005994: D3AC6800 000397CC D3AD8C88 8622714C
	v_mfma_scale_f32_16x16x128_f8f6f4 a[140:143], v[76:79], v[60:63], a[140:143], v204, v203 op_sel_hi:[0,0,0] cbsz:4 blgp:4// 0000000059A4: D3AC7800 000397CC D3AD8C8C 8632794C
	v_mfma_scale_f32_16x16x128_f8f6f4 a[128:131], v[80:83], v[64:67], a[128:131], v204, v203 op_sel_hi:[0,0,0] cbsz:4 blgp:4// 0000000059B4: D3AC6000 180397CC D3AD8C80 86028150
	v_mfma_scale_f32_16x16x128_f8f6f4 a[132:135], v[80:83], v[68:71], a[132:135], v204, v203 op_sel_hi:[0,0,0] cbsz:4 blgp:4// 0000000059C4: D3AC7000 180397CC D3AD8C84 86128950
	v_mfma_scale_f32_16x16x128_f8f6f4 a[136:139], v[84:87], v[64:67], a[136:139], v204, v203 op_sel_hi:[0,0,0] cbsz:4 blgp:4// 0000000059D4: D3AC6800 180397CC D3AD8C88 86228154
	v_mfma_scale_f32_16x16x128_f8f6f4 a[140:143], v[84:87], v[68:71], a[140:143], v204, v203 op_sel_hi:[0,0,0] cbsz:4 blgp:4// 0000000059E4: D3AC7800 180397CC D3AD8C8C 86328954
	s_waitcnt vmcnt(10)                                        // 0000000059F4: BF8C0F7A
	v_mfma_scale_f32_16x16x128_f8f6f4 a[16:19], v[88:91], v[40:43], a[16:19], v205, v202 op_sel_hi:[0,0,0] cbsz:4 blgp:4// 0000000059F8: D3AC6000 000395CD D3AD8C10 84425158
	buffer_load_dwordx4 v[136:139], v226, s[16:19], 0 offen    // 000000005A08: E05C1000 800488E2
	v_mfma_scale_f32_16x16x128_f8f6f4 a[20:23], v[88:91], v[44:47], a[20:23], v205, v202 op_sel_hi:[0,0,0] cbsz:4 blgp:4// 000000005A10: D3AC7000 000395CD D3AD8C14 84525958
	v_mfma_scale_f32_16x16x128_f8f6f4 a[24:27], v[92:95], v[40:43], a[24:27], v205, v202 op_sel_hi:[0,0,0] cbsz:4 blgp:4// 000000005A20: D3AC6800 000395CD D3AD8C18 8462515C
	buffer_load_dwordx4 v[140:143], v227, s[16:19], 0 offen    // 000000005A30: E05C1000 80048CE3
	v_mfma_scale_f32_16x16x128_f8f6f4 a[28:31], v[92:95], v[44:47], a[28:31], v205, v202 op_sel_hi:[0,0,0] cbsz:4 blgp:4// 000000005A38: D3AC7800 000395CD D3AD8C1C 8472595C
	v_mfma_scale_f32_16x16x128_f8f6f4 a[16:19], v[96:99], v[48:51], a[16:19], v205, v202 op_sel_hi:[0,0,0] cbsz:4 blgp:4// 000000005A48: D3AC6000 180395CD D3AD8C10 84426160
	buffer_load_dwordx4 v[144:147], v226, s[16:19], 0 offen offset:1024// 000000005A58: E05C1400 800490E2
	v_mfma_scale_f32_16x16x128_f8f6f4 a[20:23], v[96:99], v[52:55], a[20:23], v205, v202 op_sel_hi:[0,0,0] cbsz:4 blgp:4// 000000005A60: D3AC7000 180395CD D3AD8C14 84526960
	v_mfma_scale_f32_16x16x128_f8f6f4 a[24:27], v[100:103], v[48:51], a[24:27], v205, v202 op_sel_hi:[0,0,0] cbsz:4 blgp:4// 000000005A70: D3AC6800 180395CD D3AD8C18 84626164
	buffer_load_dwordx4 v[148:151], v227, s[16:19], 0 offen offset:1024// 000000005A80: E05C1400 800494E3
	v_mfma_scale_f32_16x16x128_f8f6f4 a[28:31], v[100:103], v[52:55], a[28:31], v205, v202 op_sel_hi:[0,0,0] cbsz:4 blgp:4// 000000005A88: D3AC7800 180395CD D3AD8C1C 84726964
	v_mfma_scale_f32_16x16x128_f8f6f4 a[144:147], v[88:91], v[56:59], a[144:147], v205, v203 op_sel_hi:[0,0,0] cbsz:4 blgp:4// 000000005A98: D3AC6000 000397CD D3AD8C90 86427158
	buffer_load_dword v208, v238, s[24:27], 0 offen            // 000000005AA8: E0501000 8006D0EE
	v_mfma_scale_f32_16x16x128_f8f6f4 a[148:151], v[88:91], v[60:63], a[148:151], v205, v203 op_sel_hi:[0,0,0] cbsz:4 blgp:4// 000000005AB0: D3AC7000 000397CD D3AD8C94 86527958
	v_mfma_scale_f32_16x16x128_f8f6f4 a[152:155], v[92:95], v[56:59], a[152:155], v205, v203 op_sel_hi:[0,0,0] cbsz:4 blgp:4// 000000005AC0: D3AC6800 000397CD D3AD8C98 8662715C
	v_mfma_scale_f32_16x16x128_f8f6f4 a[156:159], v[92:95], v[60:63], a[156:159], v205, v203 op_sel_hi:[0,0,0] cbsz:4 blgp:4// 000000005AD0: D3AC7800 000397CD D3AD8C9C 8672795C
	v_mfma_scale_f32_16x16x128_f8f6f4 a[144:147], v[96:99], v[64:67], a[144:147], v205, v203 op_sel_hi:[0,0,0] cbsz:4 blgp:4// 000000005AE0: D3AC6000 180397CD D3AD8C90 86428160
	v_mfma_scale_f32_16x16x128_f8f6f4 a[148:151], v[96:99], v[68:71], a[148:151], v205, v203 op_sel_hi:[0,0,0] cbsz:4 blgp:4// 000000005AF0: D3AC7000 180397CD D3AD8C94 86528960
	v_mfma_scale_f32_16x16x128_f8f6f4 a[152:155], v[100:103], v[64:67], a[152:155], v205, v203 op_sel_hi:[0,0,0] cbsz:4 blgp:4// 000000005B00: D3AC6800 180397CD D3AD8C98 86628164
	v_mfma_scale_f32_16x16x128_f8f6f4 a[156:159], v[100:103], v[68:71], a[156:159], v205, v203 op_sel_hi:[0,0,0] cbsz:4 blgp:4// 000000005B10: D3AC7800 180397CD D3AD8C9C 86728964
	s_waitcnt vmcnt(10)                                        // 000000005B20: BF8C0F7A
	v_mfma_scale_f32_16x16x128_f8f6f4 a[32:35], v[104:107], v[40:43], a[32:35], v206, v202 op_sel_hi:[0,0,0] cbsz:4 blgp:4// 000000005B24: D3AC6000 000395CE D3AD8C20 84825168
	buffer_load_dwordx4 v[152:155], v228, s[16:19], 0 offen    // 000000005B34: E05C1000 800498E4
	v_mfma_scale_f32_16x16x128_f8f6f4 a[36:39], v[104:107], v[44:47], a[36:39], v206, v202 op_sel_hi:[0,0,0] cbsz:4 blgp:4// 000000005B3C: D3AC7000 000395CE D3AD8C24 84925968
	v_mfma_scale_f32_16x16x128_f8f6f4 a[40:43], v[108:111], v[40:43], a[40:43], v206, v202 op_sel_hi:[0,0,0] cbsz:4 blgp:4// 000000005B4C: D3AC6800 000395CE D3AD8C28 84A2516C
	buffer_load_dwordx4 v[156:159], v229, s[16:19], 0 offen    // 000000005B5C: E05C1000 80049CE5
	v_mfma_scale_f32_16x16x128_f8f6f4 a[44:47], v[108:111], v[44:47], a[44:47], v206, v202 op_sel_hi:[0,0,0] cbsz:4 blgp:4// 000000005B64: D3AC7800 000395CE D3AD8C2C 84B2596C
	v_mfma_scale_f32_16x16x128_f8f6f4 a[32:35], v[112:115], v[48:51], a[32:35], v206, v202 op_sel_hi:[0,0,0] cbsz:4 blgp:4// 000000005B74: D3AC6000 180395CE D3AD8C20 84826170
	buffer_load_dwordx4 v[160:163], v228, s[16:19], 0 offen offset:1024// 000000005B84: E05C1400 8004A0E4
	v_mfma_scale_f32_16x16x128_f8f6f4 a[36:39], v[112:115], v[52:55], a[36:39], v206, v202 op_sel_hi:[0,0,0] cbsz:4 blgp:4// 000000005B8C: D3AC7000 180395CE D3AD8C24 84926970
	v_mfma_scale_f32_16x16x128_f8f6f4 a[40:43], v[116:119], v[48:51], a[40:43], v206, v202 op_sel_hi:[0,0,0] cbsz:4 blgp:4// 000000005B9C: D3AC6800 180395CE D3AD8C28 84A26174
	buffer_load_dwordx4 v[164:167], v229, s[16:19], 0 offen offset:1024// 000000005BAC: E05C1400 8004A4E5
	v_mfma_scale_f32_16x16x128_f8f6f4 a[44:47], v[116:119], v[52:55], a[44:47], v206, v202 op_sel_hi:[0,0,0] cbsz:4 blgp:4// 000000005BB4: D3AC7800 180395CE D3AD8C2C 84B26974
	v_mfma_scale_f32_16x16x128_f8f6f4 a[160:163], v[104:107], v[56:59], a[160:163], v206, v203 op_sel_hi:[0,0,0] cbsz:4 blgp:4// 000000005BC4: D3AC6000 000397CE D3AD8CA0 86827168
	buffer_load_dword v209, v239, s[24:27], 0 offen            // 000000005BD4: E0501000 8006D1EF
	v_mfma_scale_f32_16x16x128_f8f6f4 a[164:167], v[104:107], v[60:63], a[164:167], v206, v203 op_sel_hi:[0,0,0] cbsz:4 blgp:4// 000000005BDC: D3AC7000 000397CE D3AD8CA4 86927968
	v_mfma_scale_f32_16x16x128_f8f6f4 a[168:171], v[108:111], v[56:59], a[168:171], v206, v203 op_sel_hi:[0,0,0] cbsz:4 blgp:4// 000000005BEC: D3AC6800 000397CE D3AD8CA8 86A2716C
	v_mfma_scale_f32_16x16x128_f8f6f4 a[172:175], v[108:111], v[60:63], a[172:175], v206, v203 op_sel_hi:[0,0,0] cbsz:4 blgp:4// 000000005BFC: D3AC7800 000397CE D3AD8CAC 86B2796C
	v_mfma_scale_f32_16x16x128_f8f6f4 a[160:163], v[112:115], v[64:67], a[160:163], v206, v203 op_sel_hi:[0,0,0] cbsz:4 blgp:4// 000000005C0C: D3AC6000 180397CE D3AD8CA0 86828170
	v_mfma_scale_f32_16x16x128_f8f6f4 a[164:167], v[112:115], v[68:71], a[164:167], v206, v203 op_sel_hi:[0,0,0] cbsz:4 blgp:4// 000000005C1C: D3AC7000 180397CE D3AD8CA4 86928970
	v_mfma_scale_f32_16x16x128_f8f6f4 a[168:171], v[116:119], v[64:67], a[168:171], v206, v203 op_sel_hi:[0,0,0] cbsz:4 blgp:4// 000000005C2C: D3AC6800 180397CE D3AD8CA8 86A28174
	v_mfma_scale_f32_16x16x128_f8f6f4 a[172:175], v[116:119], v[68:71], a[172:175], v206, v203 op_sel_hi:[0,0,0] cbsz:4 blgp:4// 000000005C3C: D3AC7800 180397CE D3AD8CAC 86B28974
	s_waitcnt vmcnt(10)                                        // 000000005C4C: BF8C0F7A
	v_mfma_scale_f32_16x16x128_f8f6f4 a[48:51], v[120:123], v[40:43], a[48:51], v207, v202 op_sel_hi:[0,0,0] cbsz:4 blgp:4// 000000005C50: D3AC6000 000395CF D3AD8C30 84C25178
	buffer_load_dwordx4 v[168:171], v230, s[16:19], 0 offen    // 000000005C60: E05C1000 8004A8E6
	v_mfma_scale_f32_16x16x128_f8f6f4 a[52:55], v[120:123], v[44:47], a[52:55], v207, v202 op_sel_hi:[0,0,0] cbsz:4 blgp:4// 000000005C68: D3AC7000 000395CF D3AD8C34 84D25978
	v_mfma_scale_f32_16x16x128_f8f6f4 a[56:59], v[124:127], v[40:43], a[56:59], v207, v202 op_sel_hi:[0,0,0] cbsz:4 blgp:4// 000000005C78: D3AC6800 000395CF D3AD8C38 84E2517C
	buffer_load_dwordx4 v[172:175], v231, s[16:19], 0 offen    // 000000005C88: E05C1000 8004ACE7
	v_mfma_scale_f32_16x16x128_f8f6f4 a[60:63], v[124:127], v[44:47], a[60:63], v207, v202 op_sel_hi:[0,0,0] cbsz:4 blgp:4// 000000005C90: D3AC7800 000395CF D3AD8C3C 84F2597C
	v_mfma_scale_f32_16x16x128_f8f6f4 a[48:51], v[128:131], v[48:51], a[48:51], v207, v202 op_sel_hi:[0,0,0] cbsz:4 blgp:4// 000000005CA0: D3AC6000 180395CF D3AD8C30 84C26180
	buffer_load_dwordx4 v[176:179], v230, s[16:19], 0 offen offset:1024// 000000005CB0: E05C1400 8004B0E6
	v_mfma_scale_f32_16x16x128_f8f6f4 a[52:55], v[128:131], v[52:55], a[52:55], v207, v202 op_sel_hi:[0,0,0] cbsz:4 blgp:4// 000000005CB8: D3AC7000 180395CF D3AD8C34 84D26980
	v_mfma_scale_f32_16x16x128_f8f6f4 a[56:59], v[132:135], v[48:51], a[56:59], v207, v202 op_sel_hi:[0,0,0] cbsz:4 blgp:4// 000000005CC8: D3AC6800 180395CF D3AD8C38 84E26184
	buffer_load_dwordx4 v[180:183], v231, s[16:19], 0 offen offset:1024// 000000005CD8: E05C1400 8004B4E7
	v_mfma_scale_f32_16x16x128_f8f6f4 a[60:63], v[132:135], v[52:55], a[60:63], v207, v202 op_sel_hi:[0,0,0] cbsz:4 blgp:4// 000000005CE0: D3AC7800 180395CF D3AD8C3C 84F26984
	v_mfma_scale_f32_16x16x128_f8f6f4 a[176:179], v[120:123], v[56:59], a[176:179], v207, v203 op_sel_hi:[0,0,0] cbsz:4 blgp:4// 000000005CF0: D3AC6000 000397CF D3AD8CB0 86C27178
	buffer_load_dword v210, v240, s[24:27], 0 offen            // 000000005D00: E0501000 8006D2F0
	v_mfma_scale_f32_16x16x128_f8f6f4 a[180:183], v[120:123], v[60:63], a[180:183], v207, v203 op_sel_hi:[0,0,0] cbsz:4 blgp:4// 000000005D08: D3AC7000 000397CF D3AD8CB4 86D27978
	v_mfma_scale_f32_16x16x128_f8f6f4 a[184:187], v[124:127], v[56:59], a[184:187], v207, v203 op_sel_hi:[0,0,0] cbsz:4 blgp:4// 000000005D18: D3AC6800 000397CF D3AD8CB8 86E2717C
	v_mfma_scale_f32_16x16x128_f8f6f4 a[188:191], v[124:127], v[60:63], a[188:191], v207, v203 op_sel_hi:[0,0,0] cbsz:4 blgp:4// 000000005D28: D3AC7800 000397CF D3AD8CBC 86F2797C
	v_mfma_scale_f32_16x16x128_f8f6f4 a[176:179], v[128:131], v[64:67], a[176:179], v207, v203 op_sel_hi:[0,0,0] cbsz:4 blgp:4// 000000005D38: D3AC6000 180397CF D3AD8CB0 86C28180
	v_mfma_scale_f32_16x16x128_f8f6f4 a[180:183], v[128:131], v[68:71], a[180:183], v207, v203 op_sel_hi:[0,0,0] cbsz:4 blgp:4// 000000005D48: D3AC7000 180397CF D3AD8CB4 86D28980
	v_mfma_scale_f32_16x16x128_f8f6f4 a[184:187], v[132:135], v[64:67], a[184:187], v207, v203 op_sel_hi:[0,0,0] cbsz:4 blgp:4// 000000005D58: D3AC6800 180397CF D3AD8CB8 86E28184
	v_mfma_scale_f32_16x16x128_f8f6f4 a[188:191], v[132:135], v[68:71], a[188:191], v207, v203 op_sel_hi:[0,0,0] cbsz:4 blgp:4// 000000005D68: D3AC7800 180397CF D3AD8CBC 86F28984
	s_waitcnt vmcnt(10)                                        // 000000005D78: BF8C0F7A
	v_mfma_scale_f32_16x16x128_f8f6f4 a[64:67], v[136:139], v[40:43], a[64:67], v208, v202 op_sel_hi:[0,0,0] cbsz:4 blgp:4// 000000005D7C: D3AC6000 000395D0 D3AD8C40 85025188
	s_add_u32 s63, 0x100, s60                                  // 000000005D8C: 803F3CFF 00000100
	buffer_load_dwordx4 v[184:187], v232, s[16:19], 0 offen    // 000000005D94: E05C1000 8004B8E8
	v_mfma_scale_f32_16x16x128_f8f6f4 a[68:71], v[136:139], v[44:47], a[68:71], v208, v202 op_sel_hi:[0,0,0] cbsz:4 blgp:4// 000000005D9C: D3AC7000 000395D0 D3AD8C44 85125988
	s_cmp_lt_u32 s63, s61                                      // 000000005DAC: BF0A3D3F
	s_cselect_b32 s67, s67, 0                                  // 000000005DB0: 85438043
	v_mfma_scale_f32_16x16x128_f8f6f4 a[72:75], v[140:143], v[40:43], a[72:75], v208, v202 op_sel_hi:[0,0,0] cbsz:4 blgp:4// 000000005DB4: D3AC6800 000395D0 D3AD8C48 8522518C
	s_cselect_b32 s69, s69, 0                                  // 000000005DC4: 85458045
	buffer_load_dwordx4 v[188:191], v233, s[16:19], 0 offen    // 000000005DC8: E05C1000 8004BCE9
	v_mfma_scale_f32_16x16x128_f8f6f4 a[76:79], v[140:143], v[44:47], a[76:79], v208, v202 op_sel_hi:[0,0,0] cbsz:4 blgp:4// 000000005DD0: D3AC7800 000395D0 D3AD8C4C 8532598C
	v_mfma_scale_f32_16x16x128_f8f6f4 a[64:67], v[144:147], v[48:51], a[64:67], v208, v202 op_sel_hi:[0,0,0] cbsz:4 blgp:4// 000000005DE0: D3AC6000 180395D0 D3AD8C40 85026190
	buffer_load_dwordx4 v[192:195], v232, s[16:19], 0 offen offset:1024// 000000005DF0: E05C1400 8004C0E8
	v_mfma_scale_f32_16x16x128_f8f6f4 a[68:71], v[144:147], v[52:55], a[68:71], v208, v202 op_sel_hi:[0,0,0] cbsz:4 blgp:4// 000000005DF8: D3AC7000 180395D0 D3AD8C44 85126990
	v_mfma_scale_f32_16x16x128_f8f6f4 a[72:75], v[148:151], v[48:51], a[72:75], v208, v202 op_sel_hi:[0,0,0] cbsz:4 blgp:4// 000000005E08: D3AC6800 180395D0 D3AD8C48 85226194
	buffer_load_dwordx4 v[196:199], v233, s[16:19], 0 offen offset:1024// 000000005E18: E05C1400 8004C4E9
	v_mfma_scale_f32_16x16x128_f8f6f4 a[76:79], v[148:151], v[52:55], a[76:79], v208, v202 op_sel_hi:[0,0,0] cbsz:4 blgp:4// 000000005E20: D3AC7800 180395D0 D3AD8C4C 85326994
	v_mfma_scale_f32_16x16x128_f8f6f4 a[192:195], v[136:139], v[56:59], a[192:195], v208, v203 op_sel_hi:[0,0,0] cbsz:4 blgp:4// 000000005E30: D3AC6000 000397D0 D3AD8CC0 87027188
	buffer_load_dword v211, v241, s[24:27], 0 offen            // 000000005E40: E0501000 8006D3F1
	v_mfma_scale_f32_16x16x128_f8f6f4 a[196:199], v[136:139], v[60:63], a[196:199], v208, v203 op_sel_hi:[0,0,0] cbsz:4 blgp:4// 000000005E48: D3AC7000 000397D0 D3AD8CC4 87127988
	s_add_u32 s16, s16, s67                                    // 000000005E58: 80104310
	s_addc_u32 s17, 0, s17                                     // 000000005E5C: 82111180
	v_mfma_scale_f32_16x16x128_f8f6f4 a[200:203], v[140:143], v[56:59], a[200:203], v208, v203 op_sel_hi:[0,0,0] cbsz:4 blgp:4// 000000005E60: D3AC6800 000397D0 D3AD8CC8 8722718C
	s_sub_u32 s18, s18, s67                                    // 000000005E70: 80924312
	s_add_u32 s24, s24, s69                                    // 000000005E74: 80184518
	v_mfma_scale_f32_16x16x128_f8f6f4 a[204:207], v[140:143], v[60:63], a[204:207], v208, v203 op_sel_hi:[0,0,0] cbsz:4 blgp:4// 000000005E78: D3AC7800 000397D0 D3AD8CCC 8732798C
	s_addc_u32 s25, 0, s25                                     // 000000005E88: 82191980
	s_sub_u32 s26, s26, s69                                    // 000000005E8C: 809A451A
	v_mfma_scale_f32_16x16x128_f8f6f4 a[192:195], v[144:147], v[64:67], a[192:195], v208, v203 op_sel_hi:[0,0,0] cbsz:4 blgp:4// 000000005E90: D3AC6000 180397D0 D3AD8CC0 87028190
	s_add_u32 m0, 0, s65                                       // 000000005EA0: 807C4180
	buffer_load_dword v216, s[20:23], 0 offen lds              // 000000005EA4: E0511000 800500D8
	v_mfma_scale_f32_16x16x128_f8f6f4 a[196:199], v[144:147], v[68:71], a[196:199], v208, v203 op_sel_hi:[0,0,0] cbsz:4 blgp:4// 000000005EAC: D3AC7000 180397D0 D3AD8CC4 87128990
	v_mfma_scale_f32_16x16x128_f8f6f4 a[200:203], v[148:151], v[64:67], a[200:203], v208, v203 op_sel_hi:[0,0,0] cbsz:4 blgp:4// 000000005EBC: D3AC6800 180397D0 D3AD8CC8 87228194
	v_mfma_scale_f32_16x16x128_f8f6f4 a[204:207], v[148:151], v[68:71], a[204:207], v208, v203 op_sel_hi:[0,0,0] cbsz:4 blgp:4// 000000005ECC: D3AC7800 180397D0 D3AD8CCC 87328994
	s_waitcnt vmcnt(11)                                        // 000000005EDC: BF8C0F7B
	v_mfma_scale_f32_16x16x128_f8f6f4 a[80:83], v[152:155], v[40:43], a[80:83], v209, v202 op_sel_hi:[0,0,0] cbsz:4 blgp:4// 000000005EE0: D3AC6000 000395D1 D3AD8C50 85425198
	s_add_u32 m0, 0, s64                                       // 000000005EF0: 807C4080
	buffer_load_dwordx4 v212, s[12:15], 0 offen lds            // 000000005EF4: E05D1000 800300D4
	v_mfma_scale_f32_16x16x128_f8f6f4 a[84:87], v[152:155], v[44:47], a[84:87], v209, v202 op_sel_hi:[0,0,0] cbsz:4 blgp:4// 000000005EFC: D3AC7000 000395D1 D3AD8C54 85525998
	v_mfma_scale_f32_16x16x128_f8f6f4 a[88:91], v[156:159], v[40:43], a[88:91], v209, v202 op_sel_hi:[0,0,0] cbsz:4 blgp:4// 000000005F0C: D3AC6800 000395D1 D3AD8C58 8562519C
	s_add_u32 m0, 0x1080, s64                                  // 000000005F1C: 807C40FF 00001080
	buffer_load_dwordx4 v213, s[12:15], 0 offen lds            // 000000005F24: E05D1000 800300D5
	v_mfma_scale_f32_16x16x128_f8f6f4 a[92:95], v[156:159], v[44:47], a[92:95], v209, v202 op_sel_hi:[0,0,0] cbsz:4 blgp:4// 000000005F2C: D3AC7800 000395D1 D3AD8C5C 8572599C
	s_add_u32 s62, 0x200, s60                                  // 000000005F3C: 803E3CFF 00000200
	s_cmp_lt_u32 s62, s61                                      // 000000005F44: BF0A3D3E
	v_mfma_scale_f32_16x16x128_f8f6f4 a[80:83], v[160:163], v[48:51], a[80:83], v209, v202 op_sel_hi:[0,0,0] cbsz:4 blgp:4// 000000005F48: D3AC6000 180395D1 D3AD8C50 854261A0
	s_cselect_b32 s66, s66, 0                                  // 000000005F58: 85428042
	buffer_load_dwordx4 v[72:75], v218, s[16:19], 0 offen      // 000000005F5C: E05C1000 800448DA
	v_mfma_scale_f32_16x16x128_f8f6f4 a[84:87], v[160:163], v[52:55], a[84:87], v209, v202 op_sel_hi:[0,0,0] cbsz:4 blgp:4// 000000005F64: D3AC7000 180395D1 D3AD8C54 855269A0
	s_cselect_b32 s68, s68, 0                                  // 000000005F74: 85448044
	s_add_u32 s12, s12, s66                                    // 000000005F78: 800C420C
	v_mfma_scale_f32_16x16x128_f8f6f4 a[88:91], v[164:167], v[48:51], a[88:91], v209, v202 op_sel_hi:[0,0,0] cbsz:4 blgp:4// 000000005F7C: D3AC6800 180395D1 D3AD8C58 856261A4
	s_addc_u32 s13, 0, s13                                     // 000000005F8C: 820D0D80
	buffer_load_dwordx4 v[76:79], v219, s[16:19], 0 offen      // 000000005F90: E05C1000 80044CDB
	v_mfma_scale_f32_16x16x128_f8f6f4 a[92:95], v[164:167], v[52:55], a[92:95], v209, v202 op_sel_hi:[0,0,0] cbsz:4 blgp:4// 000000005F98: D3AC7800 180395D1 D3AD8C5C 857269A4
	s_sub_u32 s14, s14, s66                                    // 000000005FA8: 808E420E
	s_add_u32 s20, s20, s68                                    // 000000005FAC: 80144414
	v_mfma_scale_f32_16x16x128_f8f6f4 a[208:211], v[152:155], v[56:59], a[208:211], v209, v203 op_sel_hi:[0,0,0] cbsz:4 blgp:4// 000000005FB0: D3AC6000 000397D1 D3AD8CD0 87427198
	s_addc_u32 s21, 0, s21                                     // 000000005FC0: 82151580
	buffer_load_dwordx4 v[80:83], v218, s[16:19], 0 offen offset:1024// 000000005FC4: E05C1400 800450DA
	v_mfma_scale_f32_16x16x128_f8f6f4 a[212:215], v[152:155], v[60:63], a[212:215], v209, v203 op_sel_hi:[0,0,0] cbsz:4 blgp:4// 000000005FCC: D3AC7000 000397D1 D3AD8CD4 87527998
	s_sub_u32 s22, s22, s68                                    // 000000005FDC: 80964416
	v_mfma_scale_f32_16x16x128_f8f6f4 a[216:219], v[156:159], v[56:59], a[216:219], v209, v203 op_sel_hi:[0,0,0] cbsz:4 blgp:4// 000000005FE0: D3AC6800 000397D1 D3AD8CD8 8762719C
	buffer_load_dwordx4 v[84:87], v219, s[16:19], 0 offen offset:1024// 000000005FF0: E05C1400 800454DB
	v_mfma_scale_f32_16x16x128_f8f6f4 a[220:223], v[156:159], v[60:63], a[220:223], v209, v203 op_sel_hi:[0,0,0] cbsz:4 blgp:4// 000000005FF8: D3AC7800 000397D1 D3AD8CDC 8772799C
	v_mfma_scale_f32_16x16x128_f8f6f4 a[208:211], v[160:163], v[64:67], a[208:211], v209, v203 op_sel_hi:[0,0,0] cbsz:4 blgp:4// 000000006008: D3AC6000 180397D1 D3AD8CD0 874281A0
	buffer_load_dword v204, v234, s[24:27], 0 offen            // 000000006018: E0501000 8006CCEA
	v_mfma_scale_f32_16x16x128_f8f6f4 a[212:215], v[160:163], v[68:71], a[212:215], v209, v203 op_sel_hi:[0,0,0] cbsz:4 blgp:4// 000000006020: D3AC7000 180397D1 D3AD8CD4 875289A0
	v_mfma_scale_f32_16x16x128_f8f6f4 a[216:219], v[164:167], v[64:67], a[216:219], v209, v203 op_sel_hi:[0,0,0] cbsz:4 blgp:4// 000000006030: D3AC6800 180397D1 D3AD8CD8 876281A4
	v_mfma_scale_f32_16x16x128_f8f6f4 a[220:223], v[164:167], v[68:71], a[220:223], v209, v203 op_sel_hi:[0,0,0] cbsz:4 blgp:4// 000000006040: D3AC7800 180397D1 D3AD8CDC 877289A4
	s_waitcnt vmcnt(13)                                        // 000000006050: BF8C0F7D
	v_mfma_scale_f32_16x16x128_f8f6f4 a[96:99], v[168:171], v[40:43], a[96:99], v210, v202 op_sel_hi:[0,0,0] cbsz:4 blgp:4// 000000006054: D3AC6000 000395D2 D3AD8C60 858251A8
	buffer_load_dwordx4 v[88:91], v220, s[16:19], 0 offen      // 000000006064: E05C1000 800458DC
	v_mfma_scale_f32_16x16x128_f8f6f4 a[100:103], v[168:171], v[44:47], a[100:103], v210, v202 op_sel_hi:[0,0,0] cbsz:4 blgp:4// 00000000606C: D3AC7000 000395D2 D3AD8C64 859259A8
	v_mfma_scale_f32_16x16x128_f8f6f4 a[104:107], v[172:175], v[40:43], a[104:107], v210, v202 op_sel_hi:[0,0,0] cbsz:4 blgp:4// 00000000607C: D3AC6800 000395D2 D3AD8C68 85A251AC
	buffer_load_dwordx4 v[92:95], v221, s[16:19], 0 offen      // 00000000608C: E05C1000 80045CDD
	v_mfma_scale_f32_16x16x128_f8f6f4 a[108:111], v[172:175], v[44:47], a[108:111], v210, v202 op_sel_hi:[0,0,0] cbsz:4 blgp:4// 000000006094: D3AC7800 000395D2 D3AD8C6C 85B259AC
	v_mfma_scale_f32_16x16x128_f8f6f4 a[96:99], v[176:179], v[48:51], a[96:99], v210, v202 op_sel_hi:[0,0,0] cbsz:4 blgp:4// 0000000060A4: D3AC6000 180395D2 D3AD8C60 858261B0
	buffer_load_dwordx4 v[96:99], v220, s[16:19], 0 offen offset:1024// 0000000060B4: E05C1400 800460DC
	v_mfma_scale_f32_16x16x128_f8f6f4 a[100:103], v[176:179], v[52:55], a[100:103], v210, v202 op_sel_hi:[0,0,0] cbsz:4 blgp:4// 0000000060BC: D3AC7000 180395D2 D3AD8C64 859269B0
	v_mfma_scale_f32_16x16x128_f8f6f4 a[104:107], v[180:183], v[48:51], a[104:107], v210, v202 op_sel_hi:[0,0,0] cbsz:4 blgp:4// 0000000060CC: D3AC6800 180395D2 D3AD8C68 85A261B4
	buffer_load_dwordx4 v[100:103], v221, s[16:19], 0 offen offset:1024// 0000000060DC: E05C1400 800464DD
	v_mfma_scale_f32_16x16x128_f8f6f4 a[108:111], v[180:183], v[52:55], a[108:111], v210, v202 op_sel_hi:[0,0,0] cbsz:4 blgp:4// 0000000060E4: D3AC7800 180395D2 D3AD8C6C 85B269B4
	v_mfma_scale_f32_16x16x128_f8f6f4 a[224:227], v[168:171], v[56:59], a[224:227], v210, v203 op_sel_hi:[0,0,0] cbsz:4 blgp:4// 0000000060F4: D3AC6000 000397D2 D3AD8CE0 878271A8
	buffer_load_dword v205, v235, s[24:27], 0 offen            // 000000006104: E0501000 8006CDEB
	v_mfma_scale_f32_16x16x128_f8f6f4 a[228:231], v[168:171], v[60:63], a[228:231], v210, v203 op_sel_hi:[0,0,0] cbsz:4 blgp:4// 00000000610C: D3AC7000 000397D2 D3AD8CE4 879279A8
	v_mfma_scale_f32_16x16x128_f8f6f4 a[232:235], v[172:175], v[56:59], a[232:235], v210, v203 op_sel_hi:[0,0,0] cbsz:4 blgp:4// 00000000611C: D3AC6800 000397D2 D3AD8CE8 87A271AC
	v_mfma_scale_f32_16x16x128_f8f6f4 a[236:239], v[172:175], v[60:63], a[236:239], v210, v203 op_sel_hi:[0,0,0] cbsz:4 blgp:4// 00000000612C: D3AC7800 000397D2 D3AD8CEC 87B279AC
	v_mfma_scale_f32_16x16x128_f8f6f4 a[224:227], v[176:179], v[64:67], a[224:227], v210, v203 op_sel_hi:[0,0,0] cbsz:4 blgp:4// 00000000613C: D3AC6000 180397D2 D3AD8CE0 878281B0
	v_mfma_scale_f32_16x16x128_f8f6f4 a[228:231], v[176:179], v[68:71], a[228:231], v210, v203 op_sel_hi:[0,0,0] cbsz:4 blgp:4// 00000000614C: D3AC7000 180397D2 D3AD8CE4 879289B0
	v_mfma_scale_f32_16x16x128_f8f6f4 a[232:235], v[180:183], v[64:67], a[232:235], v210, v203 op_sel_hi:[0,0,0] cbsz:4 blgp:4// 00000000615C: D3AC6800 180397D2 D3AD8CE8 87A281B4
	v_mfma_scale_f32_16x16x128_f8f6f4 a[236:239], v[180:183], v[68:71], a[236:239], v210, v203 op_sel_hi:[0,0,0] cbsz:4 blgp:4// 00000000616C: D3AC7800 180397D2 D3AD8CEC 87B289B4
	s_waitcnt vmcnt(10)                                        // 00000000617C: BF8C0F7A
	s_barrier                                                  // 000000006180: BF8A0000
	v_mfma_scale_f32_16x16x128_f8f6f4 a[112:115], v[184:187], v[40:43], a[112:115], v211, v202 op_sel_hi:[0,0,0] cbsz:4 blgp:4// 000000006184: D3AC6000 000395D3 D3AD8C70 85C251B8
	s_addk_i32 s60, 0x100                                      // 000000006194: B73C0100
	buffer_load_dwordx4 v[104:107], v222, s[16:19], 0 offen    // 000000006198: E05C1000 800468DE
	v_mfma_scale_f32_16x16x128_f8f6f4 a[116:119], v[184:187], v[44:47], a[116:119], v211, v202 op_sel_hi:[0,0,0] cbsz:4 blgp:4// 0000000061A0: D3AC7000 000395D3 D3AD8C74 85D259B8
	s_cmp_lt_i32 s60, s61                                      // 0000000061B0: BF043D3C
	ds_read_b128 v[8:11], v214                                 // 0000000061B4: D9FE0000 080000D6
	v_mfma_scale_f32_16x16x128_f8f6f4 a[120:123], v[188:191], v[40:43], a[120:123], v211, v202 op_sel_hi:[0,0,0] cbsz:4 blgp:4// 0000000061BC: D3AC6800 000395D3 D3AD8C78 85E251BC
	buffer_load_dwordx4 v[108:111], v223, s[16:19], 0 offen    // 0000000061CC: E05C1000 80046CDF
	v_mfma_scale_f32_16x16x128_f8f6f4 a[124:127], v[188:191], v[44:47], a[124:127], v211, v202 op_sel_hi:[0,0,0] cbsz:4 blgp:4// 0000000061D4: D3AC7800 000395D3 D3AD8C7C 85F259BC
	ds_read_b128 v[16:19], v214 offset:64                      // 0000000061E4: D9FE0040 100000D6
	v_mfma_scale_f32_16x16x128_f8f6f4 a[112:115], v[192:195], v[48:51], a[112:115], v211, v202 op_sel_hi:[0,0,0] cbsz:4 blgp:4// 0000000061EC: D3AC6000 180395D3 D3AD8C70 85C261C0
	buffer_load_dwordx4 v[112:115], v222, s[16:19], 0 offen offset:1024// 0000000061FC: E05C1400 800470DE
	v_mfma_scale_f32_16x16x128_f8f6f4 a[116:119], v[192:195], v[52:55], a[116:119], v211, v202 op_sel_hi:[0,0,0] cbsz:4 blgp:4// 000000006204: D3AC7000 180395D3 D3AD8C74 85D269C0
	ds_read_b128 v[12:15], v214 offset:512                     // 000000006214: D9FE0200 0C0000D6
	v_mfma_scale_f32_16x16x128_f8f6f4 a[120:123], v[196:199], v[48:51], a[120:123], v211, v202 op_sel_hi:[0,0,0] cbsz:4 blgp:4// 00000000621C: D3AC6800 180395D3 D3AD8C78 85E261C4
	buffer_load_dwordx4 v[116:119], v223, s[16:19], 0 offen offset:1024// 00000000622C: E05C1400 800474DF
	v_mfma_scale_f32_16x16x128_f8f6f4 a[124:127], v[196:199], v[52:55], a[124:127], v211, v202 op_sel_hi:[0,0,0] cbsz:4 blgp:4// 000000006234: D3AC7800 180395D3 D3AD8C7C 85F269C4
	ds_read_b128 v[20:23], v214 offset:576                     // 000000006244: D9FE0240 140000D6
	ds_read_b32 v200, v217                                     // 00000000624C: D86C0000 C80000D9
	v_mfma_scale_f32_16x16x128_f8f6f4 a[240:243], v[184:187], v[56:59], a[240:243], v211, v203 op_sel_hi:[0,0,0] cbsz:4 blgp:4// 000000006254: D3AC6000 000397D3 D3AD8CF0 87C271B8
	buffer_load_dword v206, v236, s[24:27], 0 offen            // 000000006264: E0501000 8006CEEC
	v_mfma_scale_f32_16x16x128_f8f6f4 a[244:247], v[184:187], v[60:63], a[244:247], v211, v203 op_sel_hi:[0,0,0] cbsz:4 blgp:4// 00000000626C: D3AC7000 000397D3 D3AD8CF4 87D279B8
	ds_read_b128 v[24:27], v214 offset:4224                    // 00000000627C: D9FE1080 180000D6
	v_mfma_scale_f32_16x16x128_f8f6f4 a[248:251], v[188:191], v[56:59], a[248:251], v211, v203 op_sel_hi:[0,0,0] cbsz:4 blgp:4// 000000006284: D3AC6800 000397D3 D3AD8CF8 87E271BC
	v_mfma_scale_f32_16x16x128_f8f6f4 a[252:255], v[188:191], v[60:63], a[252:255], v211, v203 op_sel_hi:[0,0,0] cbsz:4 blgp:4// 000000006294: D3AC7800 000397D3 D3AD8CFC 87F279BC
	ds_read_b128 v[32:35], v214 offset:4288                    // 0000000062A4: D9FE10C0 200000D6
	v_mfma_scale_f32_16x16x128_f8f6f4 a[240:243], v[192:195], v[64:67], a[240:243], v211, v203 op_sel_hi:[0,0,0] cbsz:4 blgp:4// 0000000062AC: D3AC6000 180397D3 D3AD8CF0 87C281C0
	v_mfma_scale_f32_16x16x128_f8f6f4 a[244:247], v[192:195], v[68:71], a[244:247], v211, v203 op_sel_hi:[0,0,0] cbsz:4 blgp:4// 0000000062BC: D3AC7000 180397D3 D3AD8CF4 87D289C0
	ds_read_b128 v[28:31], v214 offset:4736                    // 0000000062CC: D9FE1280 1C0000D6
	v_mfma_scale_f32_16x16x128_f8f6f4 a[248:251], v[196:199], v[64:67], a[248:251], v211, v203 op_sel_hi:[0,0,0] cbsz:4 blgp:4// 0000000062D4: D3AC6800 180397D3 D3AD8CF8 87E281C4
	v_mfma_scale_f32_16x16x128_f8f6f4 a[252:255], v[196:199], v[68:71], a[252:255], v211, v203 op_sel_hi:[0,0,0] cbsz:4 blgp:4// 0000000062E4: D3AC7800 180397D3 D3AD8CFC 87F289C4
	ds_read_b128 v[36:39], v214 offset:4800                    // 0000000062F4: D9FE12C0 240000D6
	ds_read_b32 v201, v217 offset:256                          // 0000000062FC: D86C0100 C90000D9
	s_cbranch_scc0 label_0DC3                                  // 000000006304: BF840001
	s_branch label_089E                                        // 000000006308: BF82FADB

000000000000630c <label_0DC3>:
	s_waitcnt lgkmcnt(0)                                       // 00000000630C: BF8CC07F
	s_mul_i32 s62, s47, 0x400                                  // 000000006310: 923EFF2F 00000400
	s_mul_i32 s63, s46, 0x100                                  // 000000006318: 923FFF2E 00000100
	s_add_u32 s60, s62, s63                                    // 000000006320: 803C3F3E
	s_add_u32 s62, s60, 0x100                                  // 000000006324: 803EFF3C 00000100
	s_cmp_lt_i32 s44, s62                                      // 00000000632C: BF043E2C
	s_cbranch_scc1 label_11DD                                  // 000000006330: BF850410
	s_mul_i32 s62, s36, 16                                     // 000000006334: 923E9024
	v_add_u32_e32 v246, 0, v242                                // 000000006338: 69EDE480
	v_accvgpr_read_b32 v8, a0                                  // 00000000633C: D3D84008 18000100
	v_accvgpr_read_b32 v9, a1                                  // 000000006344: D3D84009 18000101
	v_accvgpr_read_b32 v10, a2                                 // 00000000634C: D3D8400A 18000102
	v_accvgpr_read_b32 v11, a3                                 // 000000006354: D3D8400B 18000103
	v_accvgpr_read_b32 v12, a8                                 // 00000000635C: D3D8400C 18000108
	v_accvgpr_read_b32 v13, a9                                 // 000000006364: D3D8400D 18000109
	v_accvgpr_read_b32 v14, a10                                // 00000000636C: D3D8400E 1800010A
	v_accvgpr_read_b32 v15, a11                                // 000000006374: D3D8400F 1800010B
	v_cvt_pk_bf16_f32 v16, v8, v9                              // 00000000637C: D2680010 00021308
	v_cvt_pk_bf16_f32 v17, v10, v11                            // 000000006384: D2680011 0002170A
	v_cvt_pk_bf16_f32 v18, v12, v13                            // 00000000638C: D2680012 00021B0C
	v_cvt_pk_bf16_f32 v19, v14, v15                            // 000000006394: D2680013 00021F0E
	s_nop 1                                                    // 00000000639C: BF800001
	v_permlane16_swap_b32_e32 v16, v18                         // 0000000063A0: 7E20B312
	s_nop 1                                                    // 0000000063A4: BF800001
	v_permlane16_swap_b32_e32 v17, v19                         // 0000000063A8: 7E22B313
	s_nop 1                                                    // 0000000063AC: BF800001
	buffer_store_dwordx4 v[16:19], v246, s[4:7], 0 offen       // 0000000063B0: E07C1000 800110F6
	v_add_u32_e32 v246, s62, v246                              // 0000000063B8: 69EDEC3E
	v_accvgpr_read_b32 v8, a4                                  // 0000000063BC: D3D84008 18000104
	v_accvgpr_read_b32 v9, a5                                  // 0000000063C4: D3D84009 18000105
	v_accvgpr_read_b32 v10, a6                                 // 0000000063CC: D3D8400A 18000106
	v_accvgpr_read_b32 v11, a7                                 // 0000000063D4: D3D8400B 18000107
	v_accvgpr_read_b32 v12, a12                                // 0000000063DC: D3D8400C 1800010C
	v_accvgpr_read_b32 v13, a13                                // 0000000063E4: D3D8400D 1800010D
	v_accvgpr_read_b32 v14, a14                                // 0000000063EC: D3D8400E 1800010E
	v_accvgpr_read_b32 v15, a15                                // 0000000063F4: D3D8400F 1800010F
	v_cvt_pk_bf16_f32 v16, v8, v9                              // 0000000063FC: D2680010 00021308
	v_cvt_pk_bf16_f32 v17, v10, v11                            // 000000006404: D2680011 0002170A
	v_cvt_pk_bf16_f32 v18, v12, v13                            // 00000000640C: D2680012 00021B0C
	v_cvt_pk_bf16_f32 v19, v14, v15                            // 000000006414: D2680013 00021F0E
	s_nop 1                                                    // 00000000641C: BF800001
	v_permlane16_swap_b32_e32 v16, v18                         // 000000006420: 7E20B312
	s_nop 1                                                    // 000000006424: BF800001
	v_permlane16_swap_b32_e32 v17, v19                         // 000000006428: 7E22B313
	s_nop 1                                                    // 00000000642C: BF800001
	buffer_store_dwordx4 v[16:19], v246, s[4:7], 0 offen       // 000000006430: E07C1000 800110F6
	v_add_u32_e32 v246, s62, v246                              // 000000006438: 69EDEC3E
	v_accvgpr_read_b32 v8, a128                                // 00000000643C: D3D84008 18000180
	v_accvgpr_read_b32 v9, a129                                // 000000006444: D3D84009 18000181
	v_accvgpr_read_b32 v10, a130                               // 00000000644C: D3D8400A 18000182
	v_accvgpr_read_b32 v11, a131                               // 000000006454: D3D8400B 18000183
	v_accvgpr_read_b32 v12, a136                               // 00000000645C: D3D8400C 18000188
	v_accvgpr_read_b32 v13, a137                               // 000000006464: D3D8400D 18000189
	v_accvgpr_read_b32 v14, a138                               // 00000000646C: D3D8400E 1800018A
	v_accvgpr_read_b32 v15, a139                               // 000000006474: D3D8400F 1800018B
	v_cvt_pk_bf16_f32 v16, v8, v9                              // 00000000647C: D2680010 00021308
	v_cvt_pk_bf16_f32 v17, v10, v11                            // 000000006484: D2680011 0002170A
	v_cvt_pk_bf16_f32 v18, v12, v13                            // 00000000648C: D2680012 00021B0C
	v_cvt_pk_bf16_f32 v19, v14, v15                            // 000000006494: D2680013 00021F0E
	s_nop 1                                                    // 00000000649C: BF800001
	v_permlane16_swap_b32_e32 v16, v18                         // 0000000064A0: 7E20B312
	s_nop 1                                                    // 0000000064A4: BF800001
	v_permlane16_swap_b32_e32 v17, v19                         // 0000000064A8: 7E22B313
	s_nop 1                                                    // 0000000064AC: BF800001
	buffer_store_dwordx4 v[16:19], v246, s[4:7], 0 offen       // 0000000064B0: E07C1000 800110F6
	v_add_u32_e32 v246, s62, v246                              // 0000000064B8: 69EDEC3E
	v_accvgpr_read_b32 v8, a132                                // 0000000064BC: D3D84008 18000184
	v_accvgpr_read_b32 v9, a133                                // 0000000064C4: D3D84009 18000185
	v_accvgpr_read_b32 v10, a134                               // 0000000064CC: D3D8400A 18000186
	v_accvgpr_read_b32 v11, a135                               // 0000000064D4: D3D8400B 18000187
	v_accvgpr_read_b32 v12, a140                               // 0000000064DC: D3D8400C 1800018C
	v_accvgpr_read_b32 v13, a141                               // 0000000064E4: D3D8400D 1800018D
	v_accvgpr_read_b32 v14, a142                               // 0000000064EC: D3D8400E 1800018E
	v_accvgpr_read_b32 v15, a143                               // 0000000064F4: D3D8400F 1800018F
	v_cvt_pk_bf16_f32 v16, v8, v9                              // 0000000064FC: D2680010 00021308
	v_cvt_pk_bf16_f32 v17, v10, v11                            // 000000006504: D2680011 0002170A
	v_cvt_pk_bf16_f32 v18, v12, v13                            // 00000000650C: D2680012 00021B0C
	v_cvt_pk_bf16_f32 v19, v14, v15                            // 000000006514: D2680013 00021F0E
	s_nop 1                                                    // 00000000651C: BF800001
	v_permlane16_swap_b32_e32 v16, v18                         // 000000006520: 7E20B312
	s_nop 1                                                    // 000000006524: BF800001
	v_permlane16_swap_b32_e32 v17, v19                         // 000000006528: 7E22B313
	s_nop 1                                                    // 00000000652C: BF800001
	buffer_store_dwordx4 v[16:19], v246, s[4:7], 0 offen       // 000000006530: E07C1000 800110F6
	v_add_u32_e32 v246, s62, v246                              // 000000006538: 69EDEC3E
	v_add_u32_e32 v246, 64, v242                               // 00000000653C: 69EDE4C0
	v_accvgpr_read_b32 v8, a16                                 // 000000006540: D3D84008 18000110
	v_accvgpr_read_b32 v9, a17                                 // 000000006548: D3D84009 18000111
	v_accvgpr_read_b32 v10, a18                                // 000000006550: D3D8400A 18000112
	v_accvgpr_read_b32 v11, a19                                // 000000006558: D3D8400B 18000113
	v_accvgpr_read_b32 v12, a24                                // 000000006560: D3D8400C 18000118
	v_accvgpr_read_b32 v13, a25                                // 000000006568: D3D8400D 18000119
	v_accvgpr_read_b32 v14, a26                                // 000000006570: D3D8400E 1800011A
	v_accvgpr_read_b32 v15, a27                                // 000000006578: D3D8400F 1800011B
	v_cvt_pk_bf16_f32 v16, v8, v9                              // 000000006580: D2680010 00021308
	v_cvt_pk_bf16_f32 v17, v10, v11                            // 000000006588: D2680011 0002170A
	v_cvt_pk_bf16_f32 v18, v12, v13                            // 000000006590: D2680012 00021B0C
	v_cvt_pk_bf16_f32 v19, v14, v15                            // 000000006598: D2680013 00021F0E
	s_nop 1                                                    // 0000000065A0: BF800001
	v_permlane16_swap_b32_e32 v16, v18                         // 0000000065A4: 7E20B312
	s_nop 1                                                    // 0000000065A8: BF800001
	v_permlane16_swap_b32_e32 v17, v19                         // 0000000065AC: 7E22B313
	s_nop 1                                                    // 0000000065B0: BF800001
	buffer_store_dwordx4 v[16:19], v246, s[4:7], 0 offen       // 0000000065B4: E07C1000 800110F6
	v_add_u32_e32 v246, s62, v246                              // 0000000065BC: 69EDEC3E
	v_accvgpr_read_b32 v8, a20                                 // 0000000065C0: D3D84008 18000114
	v_accvgpr_read_b32 v9, a21                                 // 0000000065C8: D3D84009 18000115
	v_accvgpr_read_b32 v10, a22                                // 0000000065D0: D3D8400A 18000116
	v_accvgpr_read_b32 v11, a23                                // 0000000065D8: D3D8400B 18000117
	v_accvgpr_read_b32 v12, a28                                // 0000000065E0: D3D8400C 1800011C
	v_accvgpr_read_b32 v13, a29                                // 0000000065E8: D3D8400D 1800011D
	v_accvgpr_read_b32 v14, a30                                // 0000000065F0: D3D8400E 1800011E
	v_accvgpr_read_b32 v15, a31                                // 0000000065F8: D3D8400F 1800011F
	v_cvt_pk_bf16_f32 v16, v8, v9                              // 000000006600: D2680010 00021308
	v_cvt_pk_bf16_f32 v17, v10, v11                            // 000000006608: D2680011 0002170A
	v_cvt_pk_bf16_f32 v18, v12, v13                            // 000000006610: D2680012 00021B0C
	v_cvt_pk_bf16_f32 v19, v14, v15                            // 000000006618: D2680013 00021F0E
	s_nop 1                                                    // 000000006620: BF800001
	v_permlane16_swap_b32_e32 v16, v18                         // 000000006624: 7E20B312
	s_nop 1                                                    // 000000006628: BF800001
	v_permlane16_swap_b32_e32 v17, v19                         // 00000000662C: 7E22B313
	s_nop 1                                                    // 000000006630: BF800001
	buffer_store_dwordx4 v[16:19], v246, s[4:7], 0 offen       // 000000006634: E07C1000 800110F6
	v_add_u32_e32 v246, s62, v246                              // 00000000663C: 69EDEC3E
	v_accvgpr_read_b32 v8, a144                                // 000000006640: D3D84008 18000190
	v_accvgpr_read_b32 v9, a145                                // 000000006648: D3D84009 18000191
	v_accvgpr_read_b32 v10, a146                               // 000000006650: D3D8400A 18000192
	v_accvgpr_read_b32 v11, a147                               // 000000006658: D3D8400B 18000193
	v_accvgpr_read_b32 v12, a152                               // 000000006660: D3D8400C 18000198
	v_accvgpr_read_b32 v13, a153                               // 000000006668: D3D8400D 18000199
	v_accvgpr_read_b32 v14, a154                               // 000000006670: D3D8400E 1800019A
	v_accvgpr_read_b32 v15, a155                               // 000000006678: D3D8400F 1800019B
	v_cvt_pk_bf16_f32 v16, v8, v9                              // 000000006680: D2680010 00021308
	v_cvt_pk_bf16_f32 v17, v10, v11                            // 000000006688: D2680011 0002170A
	v_cvt_pk_bf16_f32 v18, v12, v13                            // 000000006690: D2680012 00021B0C
	v_cvt_pk_bf16_f32 v19, v14, v15                            // 000000006698: D2680013 00021F0E
	s_nop 1                                                    // 0000000066A0: BF800001
	v_permlane16_swap_b32_e32 v16, v18                         // 0000000066A4: 7E20B312
	s_nop 1                                                    // 0000000066A8: BF800001
	v_permlane16_swap_b32_e32 v17, v19                         // 0000000066AC: 7E22B313
	s_nop 1                                                    // 0000000066B0: BF800001
	buffer_store_dwordx4 v[16:19], v246, s[4:7], 0 offen       // 0000000066B4: E07C1000 800110F6
	v_add_u32_e32 v246, s62, v246                              // 0000000066BC: 69EDEC3E
	v_accvgpr_read_b32 v8, a148                                // 0000000066C0: D3D84008 18000194
	v_accvgpr_read_b32 v9, a149                                // 0000000066C8: D3D84009 18000195
	v_accvgpr_read_b32 v10, a150                               // 0000000066D0: D3D8400A 18000196
	v_accvgpr_read_b32 v11, a151                               // 0000000066D8: D3D8400B 18000197
	v_accvgpr_read_b32 v12, a156                               // 0000000066E0: D3D8400C 1800019C
	v_accvgpr_read_b32 v13, a157                               // 0000000066E8: D3D8400D 1800019D
	v_accvgpr_read_b32 v14, a158                               // 0000000066F0: D3D8400E 1800019E
	v_accvgpr_read_b32 v15, a159                               // 0000000066F8: D3D8400F 1800019F
	v_cvt_pk_bf16_f32 v16, v8, v9                              // 000000006700: D2680010 00021308
	v_cvt_pk_bf16_f32 v17, v10, v11                            // 000000006708: D2680011 0002170A
	v_cvt_pk_bf16_f32 v18, v12, v13                            // 000000006710: D2680012 00021B0C
	v_cvt_pk_bf16_f32 v19, v14, v15                            // 000000006718: D2680013 00021F0E
	s_nop 1                                                    // 000000006720: BF800001
	v_permlane16_swap_b32_e32 v16, v18                         // 000000006724: 7E20B312
	s_nop 1                                                    // 000000006728: BF800001
	v_permlane16_swap_b32_e32 v17, v19                         // 00000000672C: 7E22B313
	s_nop 1                                                    // 000000006730: BF800001
	buffer_store_dwordx4 v[16:19], v246, s[4:7], 0 offen       // 000000006734: E07C1000 800110F6
	v_add_u32_e32 v246, s62, v246                              // 00000000673C: 69EDEC3E
	v_add_u32_e32 v246, 0x80, v242                             // 000000006740: 69EDE4FF 00000080
	v_accvgpr_read_b32 v8, a32                                 // 000000006748: D3D84008 18000120
	v_accvgpr_read_b32 v9, a33                                 // 000000006750: D3D84009 18000121
	v_accvgpr_read_b32 v10, a34                                // 000000006758: D3D8400A 18000122
	v_accvgpr_read_b32 v11, a35                                // 000000006760: D3D8400B 18000123
	v_accvgpr_read_b32 v12, a40                                // 000000006768: D3D8400C 18000128
	v_accvgpr_read_b32 v13, a41                                // 000000006770: D3D8400D 18000129
	v_accvgpr_read_b32 v14, a42                                // 000000006778: D3D8400E 1800012A
	v_accvgpr_read_b32 v15, a43                                // 000000006780: D3D8400F 1800012B
	v_cvt_pk_bf16_f32 v16, v8, v9                              // 000000006788: D2680010 00021308
	v_cvt_pk_bf16_f32 v17, v10, v11                            // 000000006790: D2680011 0002170A
	v_cvt_pk_bf16_f32 v18, v12, v13                            // 000000006798: D2680012 00021B0C
	v_cvt_pk_bf16_f32 v19, v14, v15                            // 0000000067A0: D2680013 00021F0E
	s_nop 1                                                    // 0000000067A8: BF800001
	v_permlane16_swap_b32_e32 v16, v18                         // 0000000067AC: 7E20B312
	s_nop 1                                                    // 0000000067B0: BF800001
	v_permlane16_swap_b32_e32 v17, v19                         // 0000000067B4: 7E22B313
	s_nop 1                                                    // 0000000067B8: BF800001
	buffer_store_dwordx4 v[16:19], v246, s[4:7], 0 offen       // 0000000067BC: E07C1000 800110F6
	v_add_u32_e32 v246, s62, v246                              // 0000000067C4: 69EDEC3E
	v_accvgpr_read_b32 v8, a36                                 // 0000000067C8: D3D84008 18000124
	v_accvgpr_read_b32 v9, a37                                 // 0000000067D0: D3D84009 18000125
	v_accvgpr_read_b32 v10, a38                                // 0000000067D8: D3D8400A 18000126
	v_accvgpr_read_b32 v11, a39                                // 0000000067E0: D3D8400B 18000127
	v_accvgpr_read_b32 v12, a44                                // 0000000067E8: D3D8400C 1800012C
	v_accvgpr_read_b32 v13, a45                                // 0000000067F0: D3D8400D 1800012D
	v_accvgpr_read_b32 v14, a46                                // 0000000067F8: D3D8400E 1800012E
	v_accvgpr_read_b32 v15, a47                                // 000000006800: D3D8400F 1800012F
	v_cvt_pk_bf16_f32 v16, v8, v9                              // 000000006808: D2680010 00021308
	v_cvt_pk_bf16_f32 v17, v10, v11                            // 000000006810: D2680011 0002170A
	v_cvt_pk_bf16_f32 v18, v12, v13                            // 000000006818: D2680012 00021B0C
	v_cvt_pk_bf16_f32 v19, v14, v15                            // 000000006820: D2680013 00021F0E
	s_nop 1                                                    // 000000006828: BF800001
	v_permlane16_swap_b32_e32 v16, v18                         // 00000000682C: 7E20B312
	s_nop 1                                                    // 000000006830: BF800001
	v_permlane16_swap_b32_e32 v17, v19                         // 000000006834: 7E22B313
	s_nop 1                                                    // 000000006838: BF800001
	buffer_store_dwordx4 v[16:19], v246, s[4:7], 0 offen       // 00000000683C: E07C1000 800110F6
	v_add_u32_e32 v246, s62, v246                              // 000000006844: 69EDEC3E
	v_accvgpr_read_b32 v8, a160                                // 000000006848: D3D84008 180001A0
	v_accvgpr_read_b32 v9, a161                                // 000000006850: D3D84009 180001A1
	v_accvgpr_read_b32 v10, a162                               // 000000006858: D3D8400A 180001A2
	v_accvgpr_read_b32 v11, a163                               // 000000006860: D3D8400B 180001A3
	v_accvgpr_read_b32 v12, a168                               // 000000006868: D3D8400C 180001A8
	v_accvgpr_read_b32 v13, a169                               // 000000006870: D3D8400D 180001A9
	v_accvgpr_read_b32 v14, a170                               // 000000006878: D3D8400E 180001AA
	v_accvgpr_read_b32 v15, a171                               // 000000006880: D3D8400F 180001AB
	v_cvt_pk_bf16_f32 v16, v8, v9                              // 000000006888: D2680010 00021308
	v_cvt_pk_bf16_f32 v17, v10, v11                            // 000000006890: D2680011 0002170A
	v_cvt_pk_bf16_f32 v18, v12, v13                            // 000000006898: D2680012 00021B0C
	v_cvt_pk_bf16_f32 v19, v14, v15                            // 0000000068A0: D2680013 00021F0E
	s_nop 1                                                    // 0000000068A8: BF800001
	v_permlane16_swap_b32_e32 v16, v18                         // 0000000068AC: 7E20B312
	s_nop 1                                                    // 0000000068B0: BF800001
	v_permlane16_swap_b32_e32 v17, v19                         // 0000000068B4: 7E22B313
	s_nop 1                                                    // 0000000068B8: BF800001
	buffer_store_dwordx4 v[16:19], v246, s[4:7], 0 offen       // 0000000068BC: E07C1000 800110F6
	v_add_u32_e32 v246, s62, v246                              // 0000000068C4: 69EDEC3E
	v_accvgpr_read_b32 v8, a164                                // 0000000068C8: D3D84008 180001A4
	v_accvgpr_read_b32 v9, a165                                // 0000000068D0: D3D84009 180001A5
	v_accvgpr_read_b32 v10, a166                               // 0000000068D8: D3D8400A 180001A6
	v_accvgpr_read_b32 v11, a167                               // 0000000068E0: D3D8400B 180001A7
	v_accvgpr_read_b32 v12, a172                               // 0000000068E8: D3D8400C 180001AC
	v_accvgpr_read_b32 v13, a173                               // 0000000068F0: D3D8400D 180001AD
	v_accvgpr_read_b32 v14, a174                               // 0000000068F8: D3D8400E 180001AE
	v_accvgpr_read_b32 v15, a175                               // 000000006900: D3D8400F 180001AF
	v_cvt_pk_bf16_f32 v16, v8, v9                              // 000000006908: D2680010 00021308
	v_cvt_pk_bf16_f32 v17, v10, v11                            // 000000006910: D2680011 0002170A
	v_cvt_pk_bf16_f32 v18, v12, v13                            // 000000006918: D2680012 00021B0C
	v_cvt_pk_bf16_f32 v19, v14, v15                            // 000000006920: D2680013 00021F0E
	s_nop 1                                                    // 000000006928: BF800001
	v_permlane16_swap_b32_e32 v16, v18                         // 00000000692C: 7E20B312
	s_nop 1                                                    // 000000006930: BF800001
	v_permlane16_swap_b32_e32 v17, v19                         // 000000006934: 7E22B313
	s_nop 1                                                    // 000000006938: BF800001
	buffer_store_dwordx4 v[16:19], v246, s[4:7], 0 offen       // 00000000693C: E07C1000 800110F6
	v_add_u32_e32 v246, s62, v246                              // 000000006944: 69EDEC3E
	v_add_u32_e32 v246, 0xc0, v242                             // 000000006948: 69EDE4FF 000000C0
	v_accvgpr_read_b32 v8, a48                                 // 000000006950: D3D84008 18000130
	v_accvgpr_read_b32 v9, a49                                 // 000000006958: D3D84009 18000131
	v_accvgpr_read_b32 v10, a50                                // 000000006960: D3D8400A 18000132
	v_accvgpr_read_b32 v11, a51                                // 000000006968: D3D8400B 18000133
	v_accvgpr_read_b32 v12, a56                                // 000000006970: D3D8400C 18000138
	v_accvgpr_read_b32 v13, a57                                // 000000006978: D3D8400D 18000139
	v_accvgpr_read_b32 v14, a58                                // 000000006980: D3D8400E 1800013A
	v_accvgpr_read_b32 v15, a59                                // 000000006988: D3D8400F 1800013B
	v_cvt_pk_bf16_f32 v16, v8, v9                              // 000000006990: D2680010 00021308
	v_cvt_pk_bf16_f32 v17, v10, v11                            // 000000006998: D2680011 0002170A
	v_cvt_pk_bf16_f32 v18, v12, v13                            // 0000000069A0: D2680012 00021B0C
	v_cvt_pk_bf16_f32 v19, v14, v15                            // 0000000069A8: D2680013 00021F0E
	s_nop 1                                                    // 0000000069B0: BF800001
	v_permlane16_swap_b32_e32 v16, v18                         // 0000000069B4: 7E20B312
	s_nop 1                                                    // 0000000069B8: BF800001
	v_permlane16_swap_b32_e32 v17, v19                         // 0000000069BC: 7E22B313
	s_nop 1                                                    // 0000000069C0: BF800001
	buffer_store_dwordx4 v[16:19], v246, s[4:7], 0 offen       // 0000000069C4: E07C1000 800110F6
	v_add_u32_e32 v246, s62, v246                              // 0000000069CC: 69EDEC3E
	v_accvgpr_read_b32 v8, a52                                 // 0000000069D0: D3D84008 18000134
	v_accvgpr_read_b32 v9, a53                                 // 0000000069D8: D3D84009 18000135
	v_accvgpr_read_b32 v10, a54                                // 0000000069E0: D3D8400A 18000136
	v_accvgpr_read_b32 v11, a55                                // 0000000069E8: D3D8400B 18000137
	v_accvgpr_read_b32 v12, a60                                // 0000000069F0: D3D8400C 1800013C
	v_accvgpr_read_b32 v13, a61                                // 0000000069F8: D3D8400D 1800013D
	v_accvgpr_read_b32 v14, a62                                // 000000006A00: D3D8400E 1800013E
	v_accvgpr_read_b32 v15, a63                                // 000000006A08: D3D8400F 1800013F
	v_cvt_pk_bf16_f32 v16, v8, v9                              // 000000006A10: D2680010 00021308
	v_cvt_pk_bf16_f32 v17, v10, v11                            // 000000006A18: D2680011 0002170A
	v_cvt_pk_bf16_f32 v18, v12, v13                            // 000000006A20: D2680012 00021B0C
	v_cvt_pk_bf16_f32 v19, v14, v15                            // 000000006A28: D2680013 00021F0E
	s_nop 1                                                    // 000000006A30: BF800001
	v_permlane16_swap_b32_e32 v16, v18                         // 000000006A34: 7E20B312
	s_nop 1                                                    // 000000006A38: BF800001
	v_permlane16_swap_b32_e32 v17, v19                         // 000000006A3C: 7E22B313
	s_nop 1                                                    // 000000006A40: BF800001
	buffer_store_dwordx4 v[16:19], v246, s[4:7], 0 offen       // 000000006A44: E07C1000 800110F6
	v_add_u32_e32 v246, s62, v246                              // 000000006A4C: 69EDEC3E
	v_accvgpr_read_b32 v8, a176                                // 000000006A50: D3D84008 180001B0
	v_accvgpr_read_b32 v9, a177                                // 000000006A58: D3D84009 180001B1
	v_accvgpr_read_b32 v10, a178                               // 000000006A60: D3D8400A 180001B2
	v_accvgpr_read_b32 v11, a179                               // 000000006A68: D3D8400B 180001B3
	v_accvgpr_read_b32 v12, a184                               // 000000006A70: D3D8400C 180001B8
	v_accvgpr_read_b32 v13, a185                               // 000000006A78: D3D8400D 180001B9
	v_accvgpr_read_b32 v14, a186                               // 000000006A80: D3D8400E 180001BA
	v_accvgpr_read_b32 v15, a187                               // 000000006A88: D3D8400F 180001BB
	v_cvt_pk_bf16_f32 v16, v8, v9                              // 000000006A90: D2680010 00021308
	v_cvt_pk_bf16_f32 v17, v10, v11                            // 000000006A98: D2680011 0002170A
	v_cvt_pk_bf16_f32 v18, v12, v13                            // 000000006AA0: D2680012 00021B0C
	v_cvt_pk_bf16_f32 v19, v14, v15                            // 000000006AA8: D2680013 00021F0E
	s_nop 1                                                    // 000000006AB0: BF800001
	v_permlane16_swap_b32_e32 v16, v18                         // 000000006AB4: 7E20B312
	s_nop 1                                                    // 000000006AB8: BF800001
	v_permlane16_swap_b32_e32 v17, v19                         // 000000006ABC: 7E22B313
	s_nop 1                                                    // 000000006AC0: BF800001
	buffer_store_dwordx4 v[16:19], v246, s[4:7], 0 offen       // 000000006AC4: E07C1000 800110F6
	v_add_u32_e32 v246, s62, v246                              // 000000006ACC: 69EDEC3E
	v_accvgpr_read_b32 v8, a180                                // 000000006AD0: D3D84008 180001B4
	v_accvgpr_read_b32 v9, a181                                // 000000006AD8: D3D84009 180001B5
	v_accvgpr_read_b32 v10, a182                               // 000000006AE0: D3D8400A 180001B6
	v_accvgpr_read_b32 v11, a183                               // 000000006AE8: D3D8400B 180001B7
	v_accvgpr_read_b32 v12, a188                               // 000000006AF0: D3D8400C 180001BC
	v_accvgpr_read_b32 v13, a189                               // 000000006AF8: D3D8400D 180001BD
	v_accvgpr_read_b32 v14, a190                               // 000000006B00: D3D8400E 180001BE
	v_accvgpr_read_b32 v15, a191                               // 000000006B08: D3D8400F 180001BF
	v_cvt_pk_bf16_f32 v16, v8, v9                              // 000000006B10: D2680010 00021308
	v_cvt_pk_bf16_f32 v17, v10, v11                            // 000000006B18: D2680011 0002170A
	v_cvt_pk_bf16_f32 v18, v12, v13                            // 000000006B20: D2680012 00021B0C
	v_cvt_pk_bf16_f32 v19, v14, v15                            // 000000006B28: D2680013 00021F0E
	s_nop 1                                                    // 000000006B30: BF800001
	v_permlane16_swap_b32_e32 v16, v18                         // 000000006B34: 7E20B312
	s_nop 1                                                    // 000000006B38: BF800001
	v_permlane16_swap_b32_e32 v17, v19                         // 000000006B3C: 7E22B313
	s_nop 1                                                    // 000000006B40: BF800001
	buffer_store_dwordx4 v[16:19], v246, s[4:7], 0 offen       // 000000006B44: E07C1000 800110F6
	v_add_u32_e32 v246, s62, v246                              // 000000006B4C: 69EDEC3E
	v_add_u32_e32 v246, 0x100, v242                            // 000000006B50: 69EDE4FF 00000100
	v_accvgpr_read_b32 v8, a64                                 // 000000006B58: D3D84008 18000140
	v_accvgpr_read_b32 v9, a65                                 // 000000006B60: D3D84009 18000141
	v_accvgpr_read_b32 v10, a66                                // 000000006B68: D3D8400A 18000142
	v_accvgpr_read_b32 v11, a67                                // 000000006B70: D3D8400B 18000143
	v_accvgpr_read_b32 v12, a72                                // 000000006B78: D3D8400C 18000148
	v_accvgpr_read_b32 v13, a73                                // 000000006B80: D3D8400D 18000149
	v_accvgpr_read_b32 v14, a74                                // 000000006B88: D3D8400E 1800014A
	v_accvgpr_read_b32 v15, a75                                // 000000006B90: D3D8400F 1800014B
	v_cvt_pk_bf16_f32 v16, v8, v9                              // 000000006B98: D2680010 00021308
	v_cvt_pk_bf16_f32 v17, v10, v11                            // 000000006BA0: D2680011 0002170A
	v_cvt_pk_bf16_f32 v18, v12, v13                            // 000000006BA8: D2680012 00021B0C
	v_cvt_pk_bf16_f32 v19, v14, v15                            // 000000006BB0: D2680013 00021F0E
	s_nop 1                                                    // 000000006BB8: BF800001
	v_permlane16_swap_b32_e32 v16, v18                         // 000000006BBC: 7E20B312
	s_nop 1                                                    // 000000006BC0: BF800001
	v_permlane16_swap_b32_e32 v17, v19                         // 000000006BC4: 7E22B313
	s_nop 1                                                    // 000000006BC8: BF800001
	buffer_store_dwordx4 v[16:19], v246, s[4:7], 0 offen       // 000000006BCC: E07C1000 800110F6
	v_add_u32_e32 v246, s62, v246                              // 000000006BD4: 69EDEC3E
	v_accvgpr_read_b32 v8, a68                                 // 000000006BD8: D3D84008 18000144
	v_accvgpr_read_b32 v9, a69                                 // 000000006BE0: D3D84009 18000145
	v_accvgpr_read_b32 v10, a70                                // 000000006BE8: D3D8400A 18000146
	v_accvgpr_read_b32 v11, a71                                // 000000006BF0: D3D8400B 18000147
	v_accvgpr_read_b32 v12, a76                                // 000000006BF8: D3D8400C 1800014C
	v_accvgpr_read_b32 v13, a77                                // 000000006C00: D3D8400D 1800014D
	v_accvgpr_read_b32 v14, a78                                // 000000006C08: D3D8400E 1800014E
	v_accvgpr_read_b32 v15, a79                                // 000000006C10: D3D8400F 1800014F
	v_cvt_pk_bf16_f32 v16, v8, v9                              // 000000006C18: D2680010 00021308
	v_cvt_pk_bf16_f32 v17, v10, v11                            // 000000006C20: D2680011 0002170A
	v_cvt_pk_bf16_f32 v18, v12, v13                            // 000000006C28: D2680012 00021B0C
	v_cvt_pk_bf16_f32 v19, v14, v15                            // 000000006C30: D2680013 00021F0E
	s_nop 1                                                    // 000000006C38: BF800001
	v_permlane16_swap_b32_e32 v16, v18                         // 000000006C3C: 7E20B312
	s_nop 1                                                    // 000000006C40: BF800001
	v_permlane16_swap_b32_e32 v17, v19                         // 000000006C44: 7E22B313
	s_nop 1                                                    // 000000006C48: BF800001
	buffer_store_dwordx4 v[16:19], v246, s[4:7], 0 offen       // 000000006C4C: E07C1000 800110F6
	v_add_u32_e32 v246, s62, v246                              // 000000006C54: 69EDEC3E
	v_accvgpr_read_b32 v8, a192                                // 000000006C58: D3D84008 180001C0
	v_accvgpr_read_b32 v9, a193                                // 000000006C60: D3D84009 180001C1
	v_accvgpr_read_b32 v10, a194                               // 000000006C68: D3D8400A 180001C2
	v_accvgpr_read_b32 v11, a195                               // 000000006C70: D3D8400B 180001C3
	v_accvgpr_read_b32 v12, a200                               // 000000006C78: D3D8400C 180001C8
	v_accvgpr_read_b32 v13, a201                               // 000000006C80: D3D8400D 180001C9
	v_accvgpr_read_b32 v14, a202                               // 000000006C88: D3D8400E 180001CA
	v_accvgpr_read_b32 v15, a203                               // 000000006C90: D3D8400F 180001CB
	v_cvt_pk_bf16_f32 v16, v8, v9                              // 000000006C98: D2680010 00021308
	v_cvt_pk_bf16_f32 v17, v10, v11                            // 000000006CA0: D2680011 0002170A
	v_cvt_pk_bf16_f32 v18, v12, v13                            // 000000006CA8: D2680012 00021B0C
	v_cvt_pk_bf16_f32 v19, v14, v15                            // 000000006CB0: D2680013 00021F0E
	s_nop 1                                                    // 000000006CB8: BF800001
	v_permlane16_swap_b32_e32 v16, v18                         // 000000006CBC: 7E20B312
	s_nop 1                                                    // 000000006CC0: BF800001
	v_permlane16_swap_b32_e32 v17, v19                         // 000000006CC4: 7E22B313
	s_nop 1                                                    // 000000006CC8: BF800001
	buffer_store_dwordx4 v[16:19], v246, s[4:7], 0 offen       // 000000006CCC: E07C1000 800110F6
	v_add_u32_e32 v246, s62, v246                              // 000000006CD4: 69EDEC3E
	v_accvgpr_read_b32 v8, a196                                // 000000006CD8: D3D84008 180001C4
	v_accvgpr_read_b32 v9, a197                                // 000000006CE0: D3D84009 180001C5
	v_accvgpr_read_b32 v10, a198                               // 000000006CE8: D3D8400A 180001C6
	v_accvgpr_read_b32 v11, a199                               // 000000006CF0: D3D8400B 180001C7
	v_accvgpr_read_b32 v12, a204                               // 000000006CF8: D3D8400C 180001CC
	v_accvgpr_read_b32 v13, a205                               // 000000006D00: D3D8400D 180001CD
	v_accvgpr_read_b32 v14, a206                               // 000000006D08: D3D8400E 180001CE
	v_accvgpr_read_b32 v15, a207                               // 000000006D10: D3D8400F 180001CF
	v_cvt_pk_bf16_f32 v16, v8, v9                              // 000000006D18: D2680010 00021308
	v_cvt_pk_bf16_f32 v17, v10, v11                            // 000000006D20: D2680011 0002170A
	v_cvt_pk_bf16_f32 v18, v12, v13                            // 000000006D28: D2680012 00021B0C
	v_cvt_pk_bf16_f32 v19, v14, v15                            // 000000006D30: D2680013 00021F0E
	s_nop 1                                                    // 000000006D38: BF800001
	v_permlane16_swap_b32_e32 v16, v18                         // 000000006D3C: 7E20B312
	s_nop 1                                                    // 000000006D40: BF800001
	v_permlane16_swap_b32_e32 v17, v19                         // 000000006D44: 7E22B313
	s_nop 1                                                    // 000000006D48: BF800001
	buffer_store_dwordx4 v[16:19], v246, s[4:7], 0 offen       // 000000006D4C: E07C1000 800110F6
	v_add_u32_e32 v246, s62, v246                              // 000000006D54: 69EDEC3E
	v_add_u32_e32 v246, 0x140, v242                            // 000000006D58: 69EDE4FF 00000140
	v_accvgpr_read_b32 v8, a80                                 // 000000006D60: D3D84008 18000150
	v_accvgpr_read_b32 v9, a81                                 // 000000006D68: D3D84009 18000151
	v_accvgpr_read_b32 v10, a82                                // 000000006D70: D3D8400A 18000152
	v_accvgpr_read_b32 v11, a83                                // 000000006D78: D3D8400B 18000153
	v_accvgpr_read_b32 v12, a88                                // 000000006D80: D3D8400C 18000158
	v_accvgpr_read_b32 v13, a89                                // 000000006D88: D3D8400D 18000159
	v_accvgpr_read_b32 v14, a90                                // 000000006D90: D3D8400E 1800015A
	v_accvgpr_read_b32 v15, a91                                // 000000006D98: D3D8400F 1800015B
	v_cvt_pk_bf16_f32 v16, v8, v9                              // 000000006DA0: D2680010 00021308
	v_cvt_pk_bf16_f32 v17, v10, v11                            // 000000006DA8: D2680011 0002170A
	v_cvt_pk_bf16_f32 v18, v12, v13                            // 000000006DB0: D2680012 00021B0C
	v_cvt_pk_bf16_f32 v19, v14, v15                            // 000000006DB8: D2680013 00021F0E
	s_nop 1                                                    // 000000006DC0: BF800001
	v_permlane16_swap_b32_e32 v16, v18                         // 000000006DC4: 7E20B312
	s_nop 1                                                    // 000000006DC8: BF800001
	v_permlane16_swap_b32_e32 v17, v19                         // 000000006DCC: 7E22B313
	s_nop 1                                                    // 000000006DD0: BF800001
	buffer_store_dwordx4 v[16:19], v246, s[4:7], 0 offen       // 000000006DD4: E07C1000 800110F6
	v_add_u32_e32 v246, s62, v246                              // 000000006DDC: 69EDEC3E
	v_accvgpr_read_b32 v8, a84                                 // 000000006DE0: D3D84008 18000154
	v_accvgpr_read_b32 v9, a85                                 // 000000006DE8: D3D84009 18000155
	v_accvgpr_read_b32 v10, a86                                // 000000006DF0: D3D8400A 18000156
	v_accvgpr_read_b32 v11, a87                                // 000000006DF8: D3D8400B 18000157
	v_accvgpr_read_b32 v12, a92                                // 000000006E00: D3D8400C 1800015C
	v_accvgpr_read_b32 v13, a93                                // 000000006E08: D3D8400D 1800015D
	v_accvgpr_read_b32 v14, a94                                // 000000006E10: D3D8400E 1800015E
	v_accvgpr_read_b32 v15, a95                                // 000000006E18: D3D8400F 1800015F
	v_cvt_pk_bf16_f32 v16, v8, v9                              // 000000006E20: D2680010 00021308
	v_cvt_pk_bf16_f32 v17, v10, v11                            // 000000006E28: D2680011 0002170A
	v_cvt_pk_bf16_f32 v18, v12, v13                            // 000000006E30: D2680012 00021B0C
	v_cvt_pk_bf16_f32 v19, v14, v15                            // 000000006E38: D2680013 00021F0E
	s_nop 1                                                    // 000000006E40: BF800001
	v_permlane16_swap_b32_e32 v16, v18                         // 000000006E44: 7E20B312
	s_nop 1                                                    // 000000006E48: BF800001
	v_permlane16_swap_b32_e32 v17, v19                         // 000000006E4C: 7E22B313
	s_nop 1                                                    // 000000006E50: BF800001
	buffer_store_dwordx4 v[16:19], v246, s[4:7], 0 offen       // 000000006E54: E07C1000 800110F6
	v_add_u32_e32 v246, s62, v246                              // 000000006E5C: 69EDEC3E
	v_accvgpr_read_b32 v8, a208                                // 000000006E60: D3D84008 180001D0
	v_accvgpr_read_b32 v9, a209                                // 000000006E68: D3D84009 180001D1
	v_accvgpr_read_b32 v10, a210                               // 000000006E70: D3D8400A 180001D2
	v_accvgpr_read_b32 v11, a211                               // 000000006E78: D3D8400B 180001D3
	v_accvgpr_read_b32 v12, a216                               // 000000006E80: D3D8400C 180001D8
	v_accvgpr_read_b32 v13, a217                               // 000000006E88: D3D8400D 180001D9
	v_accvgpr_read_b32 v14, a218                               // 000000006E90: D3D8400E 180001DA
	v_accvgpr_read_b32 v15, a219                               // 000000006E98: D3D8400F 180001DB
	v_cvt_pk_bf16_f32 v16, v8, v9                              // 000000006EA0: D2680010 00021308
	v_cvt_pk_bf16_f32 v17, v10, v11                            // 000000006EA8: D2680011 0002170A
	v_cvt_pk_bf16_f32 v18, v12, v13                            // 000000006EB0: D2680012 00021B0C
	v_cvt_pk_bf16_f32 v19, v14, v15                            // 000000006EB8: D2680013 00021F0E
	s_nop 1                                                    // 000000006EC0: BF800001
	v_permlane16_swap_b32_e32 v16, v18                         // 000000006EC4: 7E20B312
	s_nop 1                                                    // 000000006EC8: BF800001
	v_permlane16_swap_b32_e32 v17, v19                         // 000000006ECC: 7E22B313
	s_nop 1                                                    // 000000006ED0: BF800001
	buffer_store_dwordx4 v[16:19], v246, s[4:7], 0 offen       // 000000006ED4: E07C1000 800110F6
	v_add_u32_e32 v246, s62, v246                              // 000000006EDC: 69EDEC3E
	v_accvgpr_read_b32 v8, a212                                // 000000006EE0: D3D84008 180001D4
	v_accvgpr_read_b32 v9, a213                                // 000000006EE8: D3D84009 180001D5
	v_accvgpr_read_b32 v10, a214                               // 000000006EF0: D3D8400A 180001D6
	v_accvgpr_read_b32 v11, a215                               // 000000006EF8: D3D8400B 180001D7
	v_accvgpr_read_b32 v12, a220                               // 000000006F00: D3D8400C 180001DC
	v_accvgpr_read_b32 v13, a221                               // 000000006F08: D3D8400D 180001DD
	v_accvgpr_read_b32 v14, a222                               // 000000006F10: D3D8400E 180001DE
	v_accvgpr_read_b32 v15, a223                               // 000000006F18: D3D8400F 180001DF
	v_cvt_pk_bf16_f32 v16, v8, v9                              // 000000006F20: D2680010 00021308
	v_cvt_pk_bf16_f32 v17, v10, v11                            // 000000006F28: D2680011 0002170A
	v_cvt_pk_bf16_f32 v18, v12, v13                            // 000000006F30: D2680012 00021B0C
	v_cvt_pk_bf16_f32 v19, v14, v15                            // 000000006F38: D2680013 00021F0E
	s_nop 1                                                    // 000000006F40: BF800001
	v_permlane16_swap_b32_e32 v16, v18                         // 000000006F44: 7E20B312
	s_nop 1                                                    // 000000006F48: BF800001
	v_permlane16_swap_b32_e32 v17, v19                         // 000000006F4C: 7E22B313
	s_nop 1                                                    // 000000006F50: BF800001
	buffer_store_dwordx4 v[16:19], v246, s[4:7], 0 offen       // 000000006F54: E07C1000 800110F6
	v_add_u32_e32 v246, s62, v246                              // 000000006F5C: 69EDEC3E
	v_add_u32_e32 v246, 0x180, v242                            // 000000006F60: 69EDE4FF 00000180
	v_accvgpr_read_b32 v8, a96                                 // 000000006F68: D3D84008 18000160
	v_accvgpr_read_b32 v9, a97                                 // 000000006F70: D3D84009 18000161
	v_accvgpr_read_b32 v10, a98                                // 000000006F78: D3D8400A 18000162
	v_accvgpr_read_b32 v11, a99                                // 000000006F80: D3D8400B 18000163
	v_accvgpr_read_b32 v12, a104                               // 000000006F88: D3D8400C 18000168
	v_accvgpr_read_b32 v13, a105                               // 000000006F90: D3D8400D 18000169
	v_accvgpr_read_b32 v14, a106                               // 000000006F98: D3D8400E 1800016A
	v_accvgpr_read_b32 v15, a107                               // 000000006FA0: D3D8400F 1800016B
	v_cvt_pk_bf16_f32 v16, v8, v9                              // 000000006FA8: D2680010 00021308
	v_cvt_pk_bf16_f32 v17, v10, v11                            // 000000006FB0: D2680011 0002170A
	v_cvt_pk_bf16_f32 v18, v12, v13                            // 000000006FB8: D2680012 00021B0C
	v_cvt_pk_bf16_f32 v19, v14, v15                            // 000000006FC0: D2680013 00021F0E
	s_nop 1                                                    // 000000006FC8: BF800001
	v_permlane16_swap_b32_e32 v16, v18                         // 000000006FCC: 7E20B312
	s_nop 1                                                    // 000000006FD0: BF800001
	v_permlane16_swap_b32_e32 v17, v19                         // 000000006FD4: 7E22B313
	s_nop 1                                                    // 000000006FD8: BF800001
	buffer_store_dwordx4 v[16:19], v246, s[4:7], 0 offen       // 000000006FDC: E07C1000 800110F6
	v_add_u32_e32 v246, s62, v246                              // 000000006FE4: 69EDEC3E
	v_accvgpr_read_b32 v8, a100                                // 000000006FE8: D3D84008 18000164
	v_accvgpr_read_b32 v9, a101                                // 000000006FF0: D3D84009 18000165
	v_accvgpr_read_b32 v10, a102                               // 000000006FF8: D3D8400A 18000166
	v_accvgpr_read_b32 v11, a103                               // 000000007000: D3D8400B 18000167
	v_accvgpr_read_b32 v12, a108                               // 000000007008: D3D8400C 1800016C
	v_accvgpr_read_b32 v13, a109                               // 000000007010: D3D8400D 1800016D
	v_accvgpr_read_b32 v14, a110                               // 000000007018: D3D8400E 1800016E
	v_accvgpr_read_b32 v15, a111                               // 000000007020: D3D8400F 1800016F
	v_cvt_pk_bf16_f32 v16, v8, v9                              // 000000007028: D2680010 00021308
	v_cvt_pk_bf16_f32 v17, v10, v11                            // 000000007030: D2680011 0002170A
	v_cvt_pk_bf16_f32 v18, v12, v13                            // 000000007038: D2680012 00021B0C
	v_cvt_pk_bf16_f32 v19, v14, v15                            // 000000007040: D2680013 00021F0E
	s_nop 1                                                    // 000000007048: BF800001
	v_permlane16_swap_b32_e32 v16, v18                         // 00000000704C: 7E20B312
	s_nop 1                                                    // 000000007050: BF800001
	v_permlane16_swap_b32_e32 v17, v19                         // 000000007054: 7E22B313
	s_nop 1                                                    // 000000007058: BF800001
	buffer_store_dwordx4 v[16:19], v246, s[4:7], 0 offen       // 00000000705C: E07C1000 800110F6
	v_add_u32_e32 v246, s62, v246                              // 000000007064: 69EDEC3E
	v_accvgpr_read_b32 v8, a224                                // 000000007068: D3D84008 180001E0
	v_accvgpr_read_b32 v9, a225                                // 000000007070: D3D84009 180001E1
	v_accvgpr_read_b32 v10, a226                               // 000000007078: D3D8400A 180001E2
	v_accvgpr_read_b32 v11, a227                               // 000000007080: D3D8400B 180001E3
	v_accvgpr_read_b32 v12, a232                               // 000000007088: D3D8400C 180001E8
	v_accvgpr_read_b32 v13, a233                               // 000000007090: D3D8400D 180001E9
	v_accvgpr_read_b32 v14, a234                               // 000000007098: D3D8400E 180001EA
	v_accvgpr_read_b32 v15, a235                               // 0000000070A0: D3D8400F 180001EB
	v_cvt_pk_bf16_f32 v16, v8, v9                              // 0000000070A8: D2680010 00021308
	v_cvt_pk_bf16_f32 v17, v10, v11                            // 0000000070B0: D2680011 0002170A
	v_cvt_pk_bf16_f32 v18, v12, v13                            // 0000000070B8: D2680012 00021B0C
	v_cvt_pk_bf16_f32 v19, v14, v15                            // 0000000070C0: D2680013 00021F0E
	s_nop 1                                                    // 0000000070C8: BF800001
	v_permlane16_swap_b32_e32 v16, v18                         // 0000000070CC: 7E20B312
	s_nop 1                                                    // 0000000070D0: BF800001
	v_permlane16_swap_b32_e32 v17, v19                         // 0000000070D4: 7E22B313
	s_nop 1                                                    // 0000000070D8: BF800001
	buffer_store_dwordx4 v[16:19], v246, s[4:7], 0 offen       // 0000000070DC: E07C1000 800110F6
	v_add_u32_e32 v246, s62, v246                              // 0000000070E4: 69EDEC3E
	v_accvgpr_read_b32 v8, a228                                // 0000000070E8: D3D84008 180001E4
	v_accvgpr_read_b32 v9, a229                                // 0000000070F0: D3D84009 180001E5
	v_accvgpr_read_b32 v10, a230                               // 0000000070F8: D3D8400A 180001E6
	v_accvgpr_read_b32 v11, a231                               // 000000007100: D3D8400B 180001E7
	v_accvgpr_read_b32 v12, a236                               // 000000007108: D3D8400C 180001EC
	v_accvgpr_read_b32 v13, a237                               // 000000007110: D3D8400D 180001ED
	v_accvgpr_read_b32 v14, a238                               // 000000007118: D3D8400E 180001EE
	v_accvgpr_read_b32 v15, a239                               // 000000007120: D3D8400F 180001EF
	v_cvt_pk_bf16_f32 v16, v8, v9                              // 000000007128: D2680010 00021308
	v_cvt_pk_bf16_f32 v17, v10, v11                            // 000000007130: D2680011 0002170A
	v_cvt_pk_bf16_f32 v18, v12, v13                            // 000000007138: D2680012 00021B0C
	v_cvt_pk_bf16_f32 v19, v14, v15                            // 000000007140: D2680013 00021F0E
	s_nop 1                                                    // 000000007148: BF800001
	v_permlane16_swap_b32_e32 v16, v18                         // 00000000714C: 7E20B312
	s_nop 1                                                    // 000000007150: BF800001
	v_permlane16_swap_b32_e32 v17, v19                         // 000000007154: 7E22B313
	s_nop 1                                                    // 000000007158: BF800001
	buffer_store_dwordx4 v[16:19], v246, s[4:7], 0 offen       // 00000000715C: E07C1000 800110F6
	v_add_u32_e32 v246, s62, v246                              // 000000007164: 69EDEC3E
	v_add_u32_e32 v246, 0x1c0, v242                            // 000000007168: 69EDE4FF 000001C0
	v_accvgpr_read_b32 v8, a112                                // 000000007170: D3D84008 18000170
	v_accvgpr_read_b32 v9, a113                                // 000000007178: D3D84009 18000171
	v_accvgpr_read_b32 v10, a114                               // 000000007180: D3D8400A 18000172
	v_accvgpr_read_b32 v11, a115                               // 000000007188: D3D8400B 18000173
	v_accvgpr_read_b32 v12, a120                               // 000000007190: D3D8400C 18000178
	v_accvgpr_read_b32 v13, a121                               // 000000007198: D3D8400D 18000179
	v_accvgpr_read_b32 v14, a122                               // 0000000071A0: D3D8400E 1800017A
	v_accvgpr_read_b32 v15, a123                               // 0000000071A8: D3D8400F 1800017B
	v_cvt_pk_bf16_f32 v16, v8, v9                              // 0000000071B0: D2680010 00021308
	v_cvt_pk_bf16_f32 v17, v10, v11                            // 0000000071B8: D2680011 0002170A
	v_cvt_pk_bf16_f32 v18, v12, v13                            // 0000000071C0: D2680012 00021B0C
	v_cvt_pk_bf16_f32 v19, v14, v15                            // 0000000071C8: D2680013 00021F0E
	s_nop 1                                                    // 0000000071D0: BF800001
	v_permlane16_swap_b32_e32 v16, v18                         // 0000000071D4: 7E20B312
	s_nop 1                                                    // 0000000071D8: BF800001
	v_permlane16_swap_b32_e32 v17, v19                         // 0000000071DC: 7E22B313
	s_nop 1                                                    // 0000000071E0: BF800001
	buffer_store_dwordx4 v[16:19], v246, s[4:7], 0 offen       // 0000000071E4: E07C1000 800110F6
	v_add_u32_e32 v246, s62, v246                              // 0000000071EC: 69EDEC3E
	v_accvgpr_read_b32 v8, a116                                // 0000000071F0: D3D84008 18000174
	v_accvgpr_read_b32 v9, a117                                // 0000000071F8: D3D84009 18000175
	v_accvgpr_read_b32 v10, a118                               // 000000007200: D3D8400A 18000176
	v_accvgpr_read_b32 v11, a119                               // 000000007208: D3D8400B 18000177
	v_accvgpr_read_b32 v12, a124                               // 000000007210: D3D8400C 1800017C
	v_accvgpr_read_b32 v13, a125                               // 000000007218: D3D8400D 1800017D
	v_accvgpr_read_b32 v14, a126                               // 000000007220: D3D8400E 1800017E
	v_accvgpr_read_b32 v15, a127                               // 000000007228: D3D8400F 1800017F
	v_cvt_pk_bf16_f32 v16, v8, v9                              // 000000007230: D2680010 00021308
	v_cvt_pk_bf16_f32 v17, v10, v11                            // 000000007238: D2680011 0002170A
	v_cvt_pk_bf16_f32 v18, v12, v13                            // 000000007240: D2680012 00021B0C
	v_cvt_pk_bf16_f32 v19, v14, v15                            // 000000007248: D2680013 00021F0E
	s_nop 1                                                    // 000000007250: BF800001
	v_permlane16_swap_b32_e32 v16, v18                         // 000000007254: 7E20B312
	s_nop 1                                                    // 000000007258: BF800001
	v_permlane16_swap_b32_e32 v17, v19                         // 00000000725C: 7E22B313
	s_nop 1                                                    // 000000007260: BF800001
	buffer_store_dwordx4 v[16:19], v246, s[4:7], 0 offen       // 000000007264: E07C1000 800110F6
	v_add_u32_e32 v246, s62, v246                              // 00000000726C: 69EDEC3E
	v_accvgpr_read_b32 v8, a240                                // 000000007270: D3D84008 180001F0
	v_accvgpr_read_b32 v9, a241                                // 000000007278: D3D84009 180001F1
	v_accvgpr_read_b32 v10, a242                               // 000000007280: D3D8400A 180001F2
	v_accvgpr_read_b32 v11, a243                               // 000000007288: D3D8400B 180001F3
	v_accvgpr_read_b32 v12, a248                               // 000000007290: D3D8400C 180001F8
	v_accvgpr_read_b32 v13, a249                               // 000000007298: D3D8400D 180001F9
	v_accvgpr_read_b32 v14, a250                               // 0000000072A0: D3D8400E 180001FA
	v_accvgpr_read_b32 v15, a251                               // 0000000072A8: D3D8400F 180001FB
	v_cvt_pk_bf16_f32 v16, v8, v9                              // 0000000072B0: D2680010 00021308
	v_cvt_pk_bf16_f32 v17, v10, v11                            // 0000000072B8: D2680011 0002170A
	v_cvt_pk_bf16_f32 v18, v12, v13                            // 0000000072C0: D2680012 00021B0C
	v_cvt_pk_bf16_f32 v19, v14, v15                            // 0000000072C8: D2680013 00021F0E
	s_nop 1                                                    // 0000000072D0: BF800001
	v_permlane16_swap_b32_e32 v16, v18                         // 0000000072D4: 7E20B312
	s_nop 1                                                    // 0000000072D8: BF800001
	v_permlane16_swap_b32_e32 v17, v19                         // 0000000072DC: 7E22B313
	s_nop 1                                                    // 0000000072E0: BF800001
	buffer_store_dwordx4 v[16:19], v246, s[4:7], 0 offen       // 0000000072E4: E07C1000 800110F6
	v_add_u32_e32 v246, s62, v246                              // 0000000072EC: 69EDEC3E
	v_accvgpr_read_b32 v8, a244                                // 0000000072F0: D3D84008 180001F4
	v_accvgpr_read_b32 v9, a245                                // 0000000072F8: D3D84009 180001F5
	v_accvgpr_read_b32 v10, a246                               // 000000007300: D3D8400A 180001F6
	v_accvgpr_read_b32 v11, a247                               // 000000007308: D3D8400B 180001F7
	v_accvgpr_read_b32 v12, a252                               // 000000007310: D3D8400C 180001FC
	v_accvgpr_read_b32 v13, a253                               // 000000007318: D3D8400D 180001FD
	v_accvgpr_read_b32 v14, a254                               // 000000007320: D3D8400E 180001FE
	v_accvgpr_read_b32 v15, a255                               // 000000007328: D3D8400F 180001FF
	v_cvt_pk_bf16_f32 v16, v8, v9                              // 000000007330: D2680010 00021308
	v_cvt_pk_bf16_f32 v17, v10, v11                            // 000000007338: D2680011 0002170A
	v_cvt_pk_bf16_f32 v18, v12, v13                            // 000000007340: D2680012 00021B0C
	v_cvt_pk_bf16_f32 v19, v14, v15                            // 000000007348: D2680013 00021F0E
	s_nop 1                                                    // 000000007350: BF800001
	v_permlane16_swap_b32_e32 v16, v18                         // 000000007354: 7E20B312
	s_nop 1                                                    // 000000007358: BF800001
	v_permlane16_swap_b32_e32 v17, v19                         // 00000000735C: 7E22B313
	s_nop 1                                                    // 000000007360: BF800001
	buffer_store_dwordx4 v[16:19], v246, s[4:7], 0 offen       // 000000007364: E07C1000 800110F6
	v_add_u32_e32 v246, s62, v246                              // 00000000736C: 69EDEC3E
	s_branch label_1604                                        // 000000007370: BF820427

0000000000007374 <label_11DD>:
	s_mul_i32 s62, s36, 16                                     // 000000007374: 923E9024
	s_cmp_lt_i32 s60, s44                                      // 000000007378: BF042C3C
	s_cbranch_scc0 label_1604                                  // 00000000737C: BF840424
	s_addk_i32 s60, 0x20                                       // 000000007380: B73C0020
	v_add_u32_e32 v246, 0, v242                                // 000000007384: 69EDE480
	v_accvgpr_read_b32 v8, a0                                  // 000000007388: D3D84008 18000100
	v_accvgpr_read_b32 v9, a1                                  // 000000007390: D3D84009 18000101
	v_accvgpr_read_b32 v10, a2                                 // 000000007398: D3D8400A 18000102
	v_accvgpr_read_b32 v11, a3                                 // 0000000073A0: D3D8400B 18000103
	v_accvgpr_read_b32 v12, a8                                 // 0000000073A8: D3D8400C 18000108
	v_accvgpr_read_b32 v13, a9                                 // 0000000073B0: D3D8400D 18000109
	v_accvgpr_read_b32 v14, a10                                // 0000000073B8: D3D8400E 1800010A
	v_accvgpr_read_b32 v15, a11                                // 0000000073C0: D3D8400F 1800010B
	v_cvt_pk_bf16_f32 v16, v8, v9                              // 0000000073C8: D2680010 00021308
	v_cvt_pk_bf16_f32 v17, v10, v11                            // 0000000073D0: D2680011 0002170A
	v_cvt_pk_bf16_f32 v18, v12, v13                            // 0000000073D8: D2680012 00021B0C
	v_cvt_pk_bf16_f32 v19, v14, v15                            // 0000000073E0: D2680013 00021F0E
	s_nop 1                                                    // 0000000073E8: BF800001
	v_permlane16_swap_b32_e32 v16, v18                         // 0000000073EC: 7E20B312
	s_nop 1                                                    // 0000000073F0: BF800001
	v_permlane16_swap_b32_e32 v17, v19                         // 0000000073F4: 7E22B313
	s_nop 1                                                    // 0000000073F8: BF800001
	buffer_store_dwordx4 v[16:19], v246, s[4:7], 0 offen       // 0000000073FC: E07C1000 800110F6
	v_add_u32_e32 v246, s62, v246                              // 000000007404: 69EDEC3E
	v_accvgpr_read_b32 v8, a4                                  // 000000007408: D3D84008 18000104
	v_accvgpr_read_b32 v9, a5                                  // 000000007410: D3D84009 18000105
	v_accvgpr_read_b32 v10, a6                                 // 000000007418: D3D8400A 18000106
	v_accvgpr_read_b32 v11, a7                                 // 000000007420: D3D8400B 18000107
	v_accvgpr_read_b32 v12, a12                                // 000000007428: D3D8400C 1800010C
	v_accvgpr_read_b32 v13, a13                                // 000000007430: D3D8400D 1800010D
	v_accvgpr_read_b32 v14, a14                                // 000000007438: D3D8400E 1800010E
	v_accvgpr_read_b32 v15, a15                                // 000000007440: D3D8400F 1800010F
	v_cvt_pk_bf16_f32 v16, v8, v9                              // 000000007448: D2680010 00021308
	v_cvt_pk_bf16_f32 v17, v10, v11                            // 000000007450: D2680011 0002170A
	v_cvt_pk_bf16_f32 v18, v12, v13                            // 000000007458: D2680012 00021B0C
	v_cvt_pk_bf16_f32 v19, v14, v15                            // 000000007460: D2680013 00021F0E
	s_nop 1                                                    // 000000007468: BF800001
	v_permlane16_swap_b32_e32 v16, v18                         // 00000000746C: 7E20B312
	s_nop 1                                                    // 000000007470: BF800001
	v_permlane16_swap_b32_e32 v17, v19                         // 000000007474: 7E22B313
	s_nop 1                                                    // 000000007478: BF800001
	buffer_store_dwordx4 v[16:19], v246, s[4:7], 0 offen       // 00000000747C: E07C1000 800110F6
	v_add_u32_e32 v246, s62, v246                              // 000000007484: 69EDEC3E
	v_accvgpr_read_b32 v8, a128                                // 000000007488: D3D84008 18000180
	v_accvgpr_read_b32 v9, a129                                // 000000007490: D3D84009 18000181
	v_accvgpr_read_b32 v10, a130                               // 000000007498: D3D8400A 18000182
	v_accvgpr_read_b32 v11, a131                               // 0000000074A0: D3D8400B 18000183
	v_accvgpr_read_b32 v12, a136                               // 0000000074A8: D3D8400C 18000188
	v_accvgpr_read_b32 v13, a137                               // 0000000074B0: D3D8400D 18000189
	v_accvgpr_read_b32 v14, a138                               // 0000000074B8: D3D8400E 1800018A
	v_accvgpr_read_b32 v15, a139                               // 0000000074C0: D3D8400F 1800018B
	v_cvt_pk_bf16_f32 v16, v8, v9                              // 0000000074C8: D2680010 00021308
	v_cvt_pk_bf16_f32 v17, v10, v11                            // 0000000074D0: D2680011 0002170A
	v_cvt_pk_bf16_f32 v18, v12, v13                            // 0000000074D8: D2680012 00021B0C
	v_cvt_pk_bf16_f32 v19, v14, v15                            // 0000000074E0: D2680013 00021F0E
	s_nop 1                                                    // 0000000074E8: BF800001
	v_permlane16_swap_b32_e32 v16, v18                         // 0000000074EC: 7E20B312
	s_nop 1                                                    // 0000000074F0: BF800001
	v_permlane16_swap_b32_e32 v17, v19                         // 0000000074F4: 7E22B313
	s_nop 1                                                    // 0000000074F8: BF800001
	buffer_store_dwordx4 v[16:19], v246, s[4:7], 0 offen       // 0000000074FC: E07C1000 800110F6
	v_add_u32_e32 v246, s62, v246                              // 000000007504: 69EDEC3E
	v_accvgpr_read_b32 v8, a132                                // 000000007508: D3D84008 18000184
	v_accvgpr_read_b32 v9, a133                                // 000000007510: D3D84009 18000185
	v_accvgpr_read_b32 v10, a134                               // 000000007518: D3D8400A 18000186
	v_accvgpr_read_b32 v11, a135                               // 000000007520: D3D8400B 18000187
	v_accvgpr_read_b32 v12, a140                               // 000000007528: D3D8400C 1800018C
	v_accvgpr_read_b32 v13, a141                               // 000000007530: D3D8400D 1800018D
	v_accvgpr_read_b32 v14, a142                               // 000000007538: D3D8400E 1800018E
	v_accvgpr_read_b32 v15, a143                               // 000000007540: D3D8400F 1800018F
	v_cvt_pk_bf16_f32 v16, v8, v9                              // 000000007548: D2680010 00021308
	v_cvt_pk_bf16_f32 v17, v10, v11                            // 000000007550: D2680011 0002170A
	v_cvt_pk_bf16_f32 v18, v12, v13                            // 000000007558: D2680012 00021B0C
	v_cvt_pk_bf16_f32 v19, v14, v15                            // 000000007560: D2680013 00021F0E
	s_nop 1                                                    // 000000007568: BF800001
	v_permlane16_swap_b32_e32 v16, v18                         // 00000000756C: 7E20B312
	s_nop 1                                                    // 000000007570: BF800001
	v_permlane16_swap_b32_e32 v17, v19                         // 000000007574: 7E22B313
	s_nop 1                                                    // 000000007578: BF800001
	buffer_store_dwordx4 v[16:19], v246, s[4:7], 0 offen       // 00000000757C: E07C1000 800110F6
	v_add_u32_e32 v246, s62, v246                              // 000000007584: 69EDEC3E
	s_cmp_lt_i32 s60, s44                                      // 000000007588: BF042C3C
	s_cbranch_scc0 label_1604                                  // 00000000758C: BF8403A0
	s_addk_i32 s60, 0x20                                       // 000000007590: B73C0020
	v_add_u32_e32 v246, 64, v242                               // 000000007594: 69EDE4C0
	v_accvgpr_read_b32 v8, a16                                 // 000000007598: D3D84008 18000110
	v_accvgpr_read_b32 v9, a17                                 // 0000000075A0: D3D84009 18000111
	v_accvgpr_read_b32 v10, a18                                // 0000000075A8: D3D8400A 18000112
	v_accvgpr_read_b32 v11, a19                                // 0000000075B0: D3D8400B 18000113
	v_accvgpr_read_b32 v12, a24                                // 0000000075B8: D3D8400C 18000118
	v_accvgpr_read_b32 v13, a25                                // 0000000075C0: D3D8400D 18000119
	v_accvgpr_read_b32 v14, a26                                // 0000000075C8: D3D8400E 1800011A
	v_accvgpr_read_b32 v15, a27                                // 0000000075D0: D3D8400F 1800011B
	v_cvt_pk_bf16_f32 v16, v8, v9                              // 0000000075D8: D2680010 00021308
	v_cvt_pk_bf16_f32 v17, v10, v11                            // 0000000075E0: D2680011 0002170A
	v_cvt_pk_bf16_f32 v18, v12, v13                            // 0000000075E8: D2680012 00021B0C
	v_cvt_pk_bf16_f32 v19, v14, v15                            // 0000000075F0: D2680013 00021F0E
	s_nop 1                                                    // 0000000075F8: BF800001
	v_permlane16_swap_b32_e32 v16, v18                         // 0000000075FC: 7E20B312
	s_nop 1                                                    // 000000007600: BF800001
	v_permlane16_swap_b32_e32 v17, v19                         // 000000007604: 7E22B313
	s_nop 1                                                    // 000000007608: BF800001
	buffer_store_dwordx4 v[16:19], v246, s[4:7], 0 offen       // 00000000760C: E07C1000 800110F6
	v_add_u32_e32 v246, s62, v246                              // 000000007614: 69EDEC3E
	v_accvgpr_read_b32 v8, a20                                 // 000000007618: D3D84008 18000114
	v_accvgpr_read_b32 v9, a21                                 // 000000007620: D3D84009 18000115
	v_accvgpr_read_b32 v10, a22                                // 000000007628: D3D8400A 18000116
	v_accvgpr_read_b32 v11, a23                                // 000000007630: D3D8400B 18000117
	v_accvgpr_read_b32 v12, a28                                // 000000007638: D3D8400C 1800011C
	v_accvgpr_read_b32 v13, a29                                // 000000007640: D3D8400D 1800011D
	v_accvgpr_read_b32 v14, a30                                // 000000007648: D3D8400E 1800011E
	v_accvgpr_read_b32 v15, a31                                // 000000007650: D3D8400F 1800011F
	v_cvt_pk_bf16_f32 v16, v8, v9                              // 000000007658: D2680010 00021308
	v_cvt_pk_bf16_f32 v17, v10, v11                            // 000000007660: D2680011 0002170A
	v_cvt_pk_bf16_f32 v18, v12, v13                            // 000000007668: D2680012 00021B0C
	v_cvt_pk_bf16_f32 v19, v14, v15                            // 000000007670: D2680013 00021F0E
	s_nop 1                                                    // 000000007678: BF800001
	v_permlane16_swap_b32_e32 v16, v18                         // 00000000767C: 7E20B312
	s_nop 1                                                    // 000000007680: BF800001
	v_permlane16_swap_b32_e32 v17, v19                         // 000000007684: 7E22B313
	s_nop 1                                                    // 000000007688: BF800001
	buffer_store_dwordx4 v[16:19], v246, s[4:7], 0 offen       // 00000000768C: E07C1000 800110F6
	v_add_u32_e32 v246, s62, v246                              // 000000007694: 69EDEC3E
	v_accvgpr_read_b32 v8, a144                                // 000000007698: D3D84008 18000190
	v_accvgpr_read_b32 v9, a145                                // 0000000076A0: D3D84009 18000191
	v_accvgpr_read_b32 v10, a146                               // 0000000076A8: D3D8400A 18000192
	v_accvgpr_read_b32 v11, a147                               // 0000000076B0: D3D8400B 18000193
	v_accvgpr_read_b32 v12, a152                               // 0000000076B8: D3D8400C 18000198
	v_accvgpr_read_b32 v13, a153                               // 0000000076C0: D3D8400D 18000199
	v_accvgpr_read_b32 v14, a154                               // 0000000076C8: D3D8400E 1800019A
	v_accvgpr_read_b32 v15, a155                               // 0000000076D0: D3D8400F 1800019B
	v_cvt_pk_bf16_f32 v16, v8, v9                              // 0000000076D8: D2680010 00021308
	v_cvt_pk_bf16_f32 v17, v10, v11                            // 0000000076E0: D2680011 0002170A
	v_cvt_pk_bf16_f32 v18, v12, v13                            // 0000000076E8: D2680012 00021B0C
	v_cvt_pk_bf16_f32 v19, v14, v15                            // 0000000076F0: D2680013 00021F0E
	s_nop 1                                                    // 0000000076F8: BF800001
	v_permlane16_swap_b32_e32 v16, v18                         // 0000000076FC: 7E20B312
	s_nop 1                                                    // 000000007700: BF800001
	v_permlane16_swap_b32_e32 v17, v19                         // 000000007704: 7E22B313
	s_nop 1                                                    // 000000007708: BF800001
	buffer_store_dwordx4 v[16:19], v246, s[4:7], 0 offen       // 00000000770C: E07C1000 800110F6
	v_add_u32_e32 v246, s62, v246                              // 000000007714: 69EDEC3E
	v_accvgpr_read_b32 v8, a148                                // 000000007718: D3D84008 18000194
	v_accvgpr_read_b32 v9, a149                                // 000000007720: D3D84009 18000195
	v_accvgpr_read_b32 v10, a150                               // 000000007728: D3D8400A 18000196
	v_accvgpr_read_b32 v11, a151                               // 000000007730: D3D8400B 18000197
	v_accvgpr_read_b32 v12, a156                               // 000000007738: D3D8400C 1800019C
	v_accvgpr_read_b32 v13, a157                               // 000000007740: D3D8400D 1800019D
	v_accvgpr_read_b32 v14, a158                               // 000000007748: D3D8400E 1800019E
	v_accvgpr_read_b32 v15, a159                               // 000000007750: D3D8400F 1800019F
	v_cvt_pk_bf16_f32 v16, v8, v9                              // 000000007758: D2680010 00021308
	v_cvt_pk_bf16_f32 v17, v10, v11                            // 000000007760: D2680011 0002170A
	v_cvt_pk_bf16_f32 v18, v12, v13                            // 000000007768: D2680012 00021B0C
	v_cvt_pk_bf16_f32 v19, v14, v15                            // 000000007770: D2680013 00021F0E
	s_nop 1                                                    // 000000007778: BF800001
	v_permlane16_swap_b32_e32 v16, v18                         // 00000000777C: 7E20B312
	s_nop 1                                                    // 000000007780: BF800001
	v_permlane16_swap_b32_e32 v17, v19                         // 000000007784: 7E22B313
	s_nop 1                                                    // 000000007788: BF800001
	buffer_store_dwordx4 v[16:19], v246, s[4:7], 0 offen       // 00000000778C: E07C1000 800110F6
	v_add_u32_e32 v246, s62, v246                              // 000000007794: 69EDEC3E
	s_cmp_lt_i32 s60, s44                                      // 000000007798: BF042C3C
	s_cbranch_scc0 label_1604                                  // 00000000779C: BF84031C
	s_addk_i32 s60, 0x20                                       // 0000000077A0: B73C0020
	v_add_u32_e32 v246, 0x80, v242                             // 0000000077A4: 69EDE4FF 00000080
	v_accvgpr_read_b32 v8, a32                                 // 0000000077AC: D3D84008 18000120
	v_accvgpr_read_b32 v9, a33                                 // 0000000077B4: D3D84009 18000121
	v_accvgpr_read_b32 v10, a34                                // 0000000077BC: D3D8400A 18000122
	v_accvgpr_read_b32 v11, a35                                // 0000000077C4: D3D8400B 18000123
	v_accvgpr_read_b32 v12, a40                                // 0000000077CC: D3D8400C 18000128
	v_accvgpr_read_b32 v13, a41                                // 0000000077D4: D3D8400D 18000129
	v_accvgpr_read_b32 v14, a42                                // 0000000077DC: D3D8400E 1800012A
	v_accvgpr_read_b32 v15, a43                                // 0000000077E4: D3D8400F 1800012B
	v_cvt_pk_bf16_f32 v16, v8, v9                              // 0000000077EC: D2680010 00021308
	v_cvt_pk_bf16_f32 v17, v10, v11                            // 0000000077F4: D2680011 0002170A
	v_cvt_pk_bf16_f32 v18, v12, v13                            // 0000000077FC: D2680012 00021B0C
	v_cvt_pk_bf16_f32 v19, v14, v15                            // 000000007804: D2680013 00021F0E
	s_nop 1                                                    // 00000000780C: BF800001
	v_permlane16_swap_b32_e32 v16, v18                         // 000000007810: 7E20B312
	s_nop 1                                                    // 000000007814: BF800001
	v_permlane16_swap_b32_e32 v17, v19                         // 000000007818: 7E22B313
	s_nop 1                                                    // 00000000781C: BF800001
	buffer_store_dwordx4 v[16:19], v246, s[4:7], 0 offen       // 000000007820: E07C1000 800110F6
	v_add_u32_e32 v246, s62, v246                              // 000000007828: 69EDEC3E
	v_accvgpr_read_b32 v8, a36                                 // 00000000782C: D3D84008 18000124
	v_accvgpr_read_b32 v9, a37                                 // 000000007834: D3D84009 18000125
	v_accvgpr_read_b32 v10, a38                                // 00000000783C: D3D8400A 18000126
	v_accvgpr_read_b32 v11, a39                                // 000000007844: D3D8400B 18000127
	v_accvgpr_read_b32 v12, a44                                // 00000000784C: D3D8400C 1800012C
	v_accvgpr_read_b32 v13, a45                                // 000000007854: D3D8400D 1800012D
	v_accvgpr_read_b32 v14, a46                                // 00000000785C: D3D8400E 1800012E
	v_accvgpr_read_b32 v15, a47                                // 000000007864: D3D8400F 1800012F
	v_cvt_pk_bf16_f32 v16, v8, v9                              // 00000000786C: D2680010 00021308
	v_cvt_pk_bf16_f32 v17, v10, v11                            // 000000007874: D2680011 0002170A
	v_cvt_pk_bf16_f32 v18, v12, v13                            // 00000000787C: D2680012 00021B0C
	v_cvt_pk_bf16_f32 v19, v14, v15                            // 000000007884: D2680013 00021F0E
	s_nop 1                                                    // 00000000788C: BF800001
	v_permlane16_swap_b32_e32 v16, v18                         // 000000007890: 7E20B312
	s_nop 1                                                    // 000000007894: BF800001
	v_permlane16_swap_b32_e32 v17, v19                         // 000000007898: 7E22B313
	s_nop 1                                                    // 00000000789C: BF800001
	buffer_store_dwordx4 v[16:19], v246, s[4:7], 0 offen       // 0000000078A0: E07C1000 800110F6
	v_add_u32_e32 v246, s62, v246                              // 0000000078A8: 69EDEC3E
	v_accvgpr_read_b32 v8, a160                                // 0000000078AC: D3D84008 180001A0
	v_accvgpr_read_b32 v9, a161                                // 0000000078B4: D3D84009 180001A1
	v_accvgpr_read_b32 v10, a162                               // 0000000078BC: D3D8400A 180001A2
	v_accvgpr_read_b32 v11, a163                               // 0000000078C4: D3D8400B 180001A3
	v_accvgpr_read_b32 v12, a168                               // 0000000078CC: D3D8400C 180001A8
	v_accvgpr_read_b32 v13, a169                               // 0000000078D4: D3D8400D 180001A9
	v_accvgpr_read_b32 v14, a170                               // 0000000078DC: D3D8400E 180001AA
	v_accvgpr_read_b32 v15, a171                               // 0000000078E4: D3D8400F 180001AB
	v_cvt_pk_bf16_f32 v16, v8, v9                              // 0000000078EC: D2680010 00021308
	v_cvt_pk_bf16_f32 v17, v10, v11                            // 0000000078F4: D2680011 0002170A
	v_cvt_pk_bf16_f32 v18, v12, v13                            // 0000000078FC: D2680012 00021B0C
	v_cvt_pk_bf16_f32 v19, v14, v15                            // 000000007904: D2680013 00021F0E
	s_nop 1                                                    // 00000000790C: BF800001
	v_permlane16_swap_b32_e32 v16, v18                         // 000000007910: 7E20B312
	s_nop 1                                                    // 000000007914: BF800001
	v_permlane16_swap_b32_e32 v17, v19                         // 000000007918: 7E22B313
	s_nop 1                                                    // 00000000791C: BF800001
	buffer_store_dwordx4 v[16:19], v246, s[4:7], 0 offen       // 000000007920: E07C1000 800110F6
	v_add_u32_e32 v246, s62, v246                              // 000000007928: 69EDEC3E
	v_accvgpr_read_b32 v8, a164                                // 00000000792C: D3D84008 180001A4
	v_accvgpr_read_b32 v9, a165                                // 000000007934: D3D84009 180001A5
	v_accvgpr_read_b32 v10, a166                               // 00000000793C: D3D8400A 180001A6
	v_accvgpr_read_b32 v11, a167                               // 000000007944: D3D8400B 180001A7
	v_accvgpr_read_b32 v12, a172                               // 00000000794C: D3D8400C 180001AC
	v_accvgpr_read_b32 v13, a173                               // 000000007954: D3D8400D 180001AD
	v_accvgpr_read_b32 v14, a174                               // 00000000795C: D3D8400E 180001AE
	v_accvgpr_read_b32 v15, a175                               // 000000007964: D3D8400F 180001AF
	v_cvt_pk_bf16_f32 v16, v8, v9                              // 00000000796C: D2680010 00021308
	v_cvt_pk_bf16_f32 v17, v10, v11                            // 000000007974: D2680011 0002170A
	v_cvt_pk_bf16_f32 v18, v12, v13                            // 00000000797C: D2680012 00021B0C
	v_cvt_pk_bf16_f32 v19, v14, v15                            // 000000007984: D2680013 00021F0E
	s_nop 1                                                    // 00000000798C: BF800001
	v_permlane16_swap_b32_e32 v16, v18                         // 000000007990: 7E20B312
	s_nop 1                                                    // 000000007994: BF800001
	v_permlane16_swap_b32_e32 v17, v19                         // 000000007998: 7E22B313
	s_nop 1                                                    // 00000000799C: BF800001
	buffer_store_dwordx4 v[16:19], v246, s[4:7], 0 offen       // 0000000079A0: E07C1000 800110F6
	v_add_u32_e32 v246, s62, v246                              // 0000000079A8: 69EDEC3E
	s_cmp_lt_i32 s60, s44                                      // 0000000079AC: BF042C3C
	s_cbranch_scc0 label_1604                                  // 0000000079B0: BF840297
	s_addk_i32 s60, 0x20                                       // 0000000079B4: B73C0020
	v_add_u32_e32 v246, 0xc0, v242                             // 0000000079B8: 69EDE4FF 000000C0
	v_accvgpr_read_b32 v8, a48                                 // 0000000079C0: D3D84008 18000130
	v_accvgpr_read_b32 v9, a49                                 // 0000000079C8: D3D84009 18000131
	v_accvgpr_read_b32 v10, a50                                // 0000000079D0: D3D8400A 18000132
	v_accvgpr_read_b32 v11, a51                                // 0000000079D8: D3D8400B 18000133
	v_accvgpr_read_b32 v12, a56                                // 0000000079E0: D3D8400C 18000138
	v_accvgpr_read_b32 v13, a57                                // 0000000079E8: D3D8400D 18000139
	v_accvgpr_read_b32 v14, a58                                // 0000000079F0: D3D8400E 1800013A
	v_accvgpr_read_b32 v15, a59                                // 0000000079F8: D3D8400F 1800013B
	v_cvt_pk_bf16_f32 v16, v8, v9                              // 000000007A00: D2680010 00021308
	v_cvt_pk_bf16_f32 v17, v10, v11                            // 000000007A08: D2680011 0002170A
	v_cvt_pk_bf16_f32 v18, v12, v13                            // 000000007A10: D2680012 00021B0C
	v_cvt_pk_bf16_f32 v19, v14, v15                            // 000000007A18: D2680013 00021F0E
	s_nop 1                                                    // 000000007A20: BF800001
	v_permlane16_swap_b32_e32 v16, v18                         // 000000007A24: 7E20B312
	s_nop 1                                                    // 000000007A28: BF800001
	v_permlane16_swap_b32_e32 v17, v19                         // 000000007A2C: 7E22B313
	s_nop 1                                                    // 000000007A30: BF800001
	buffer_store_dwordx4 v[16:19], v246, s[4:7], 0 offen       // 000000007A34: E07C1000 800110F6
	v_add_u32_e32 v246, s62, v246                              // 000000007A3C: 69EDEC3E
	v_accvgpr_read_b32 v8, a52                                 // 000000007A40: D3D84008 18000134
	v_accvgpr_read_b32 v9, a53                                 // 000000007A48: D3D84009 18000135
	v_accvgpr_read_b32 v10, a54                                // 000000007A50: D3D8400A 18000136
	v_accvgpr_read_b32 v11, a55                                // 000000007A58: D3D8400B 18000137
	v_accvgpr_read_b32 v12, a60                                // 000000007A60: D3D8400C 1800013C
	v_accvgpr_read_b32 v13, a61                                // 000000007A68: D3D8400D 1800013D
	v_accvgpr_read_b32 v14, a62                                // 000000007A70: D3D8400E 1800013E
	v_accvgpr_read_b32 v15, a63                                // 000000007A78: D3D8400F 1800013F
	v_cvt_pk_bf16_f32 v16, v8, v9                              // 000000007A80: D2680010 00021308
	v_cvt_pk_bf16_f32 v17, v10, v11                            // 000000007A88: D2680011 0002170A
	v_cvt_pk_bf16_f32 v18, v12, v13                            // 000000007A90: D2680012 00021B0C
	v_cvt_pk_bf16_f32 v19, v14, v15                            // 000000007A98: D2680013 00021F0E
	s_nop 1                                                    // 000000007AA0: BF800001
	v_permlane16_swap_b32_e32 v16, v18                         // 000000007AA4: 7E20B312
	s_nop 1                                                    // 000000007AA8: BF800001
	v_permlane16_swap_b32_e32 v17, v19                         // 000000007AAC: 7E22B313
	s_nop 1                                                    // 000000007AB0: BF800001
	buffer_store_dwordx4 v[16:19], v246, s[4:7], 0 offen       // 000000007AB4: E07C1000 800110F6
	v_add_u32_e32 v246, s62, v246                              // 000000007ABC: 69EDEC3E
	v_accvgpr_read_b32 v8, a176                                // 000000007AC0: D3D84008 180001B0
	v_accvgpr_read_b32 v9, a177                                // 000000007AC8: D3D84009 180001B1
	v_accvgpr_read_b32 v10, a178                               // 000000007AD0: D3D8400A 180001B2
	v_accvgpr_read_b32 v11, a179                               // 000000007AD8: D3D8400B 180001B3
	v_accvgpr_read_b32 v12, a184                               // 000000007AE0: D3D8400C 180001B8
	v_accvgpr_read_b32 v13, a185                               // 000000007AE8: D3D8400D 180001B9
	v_accvgpr_read_b32 v14, a186                               // 000000007AF0: D3D8400E 180001BA
	v_accvgpr_read_b32 v15, a187                               // 000000007AF8: D3D8400F 180001BB
	v_cvt_pk_bf16_f32 v16, v8, v9                              // 000000007B00: D2680010 00021308
	v_cvt_pk_bf16_f32 v17, v10, v11                            // 000000007B08: D2680011 0002170A
	v_cvt_pk_bf16_f32 v18, v12, v13                            // 000000007B10: D2680012 00021B0C
	v_cvt_pk_bf16_f32 v19, v14, v15                            // 000000007B18: D2680013 00021F0E
	s_nop 1                                                    // 000000007B20: BF800001
	v_permlane16_swap_b32_e32 v16, v18                         // 000000007B24: 7E20B312
	s_nop 1                                                    // 000000007B28: BF800001
	v_permlane16_swap_b32_e32 v17, v19                         // 000000007B2C: 7E22B313
	s_nop 1                                                    // 000000007B30: BF800001
	buffer_store_dwordx4 v[16:19], v246, s[4:7], 0 offen       // 000000007B34: E07C1000 800110F6
	v_add_u32_e32 v246, s62, v246                              // 000000007B3C: 69EDEC3E
	v_accvgpr_read_b32 v8, a180                                // 000000007B40: D3D84008 180001B4
	v_accvgpr_read_b32 v9, a181                                // 000000007B48: D3D84009 180001B5
	v_accvgpr_read_b32 v10, a182                               // 000000007B50: D3D8400A 180001B6
	v_accvgpr_read_b32 v11, a183                               // 000000007B58: D3D8400B 180001B7
	v_accvgpr_read_b32 v12, a188                               // 000000007B60: D3D8400C 180001BC
	v_accvgpr_read_b32 v13, a189                               // 000000007B68: D3D8400D 180001BD
	v_accvgpr_read_b32 v14, a190                               // 000000007B70: D3D8400E 180001BE
	v_accvgpr_read_b32 v15, a191                               // 000000007B78: D3D8400F 180001BF
	v_cvt_pk_bf16_f32 v16, v8, v9                              // 000000007B80: D2680010 00021308
	v_cvt_pk_bf16_f32 v17, v10, v11                            // 000000007B88: D2680011 0002170A
	v_cvt_pk_bf16_f32 v18, v12, v13                            // 000000007B90: D2680012 00021B0C
	v_cvt_pk_bf16_f32 v19, v14, v15                            // 000000007B98: D2680013 00021F0E
	s_nop 1                                                    // 000000007BA0: BF800001
	v_permlane16_swap_b32_e32 v16, v18                         // 000000007BA4: 7E20B312
	s_nop 1                                                    // 000000007BA8: BF800001
	v_permlane16_swap_b32_e32 v17, v19                         // 000000007BAC: 7E22B313
	s_nop 1                                                    // 000000007BB0: BF800001
	buffer_store_dwordx4 v[16:19], v246, s[4:7], 0 offen       // 000000007BB4: E07C1000 800110F6
	v_add_u32_e32 v246, s62, v246                              // 000000007BBC: 69EDEC3E
	s_cmp_lt_i32 s60, s44                                      // 000000007BC0: BF042C3C
	s_cbranch_scc0 label_1604                                  // 000000007BC4: BF840212
	s_addk_i32 s60, 0x20                                       // 000000007BC8: B73C0020
	v_add_u32_e32 v246, 0x100, v242                            // 000000007BCC: 69EDE4FF 00000100
	v_accvgpr_read_b32 v8, a64                                 // 000000007BD4: D3D84008 18000140
	v_accvgpr_read_b32 v9, a65                                 // 000000007BDC: D3D84009 18000141
	v_accvgpr_read_b32 v10, a66                                // 000000007BE4: D3D8400A 18000142
	v_accvgpr_read_b32 v11, a67                                // 000000007BEC: D3D8400B 18000143
	v_accvgpr_read_b32 v12, a72                                // 000000007BF4: D3D8400C 18000148
	v_accvgpr_read_b32 v13, a73                                // 000000007BFC: D3D8400D 18000149
	v_accvgpr_read_b32 v14, a74                                // 000000007C04: D3D8400E 1800014A
	v_accvgpr_read_b32 v15, a75                                // 000000007C0C: D3D8400F 1800014B
	v_cvt_pk_bf16_f32 v16, v8, v9                              // 000000007C14: D2680010 00021308
	v_cvt_pk_bf16_f32 v17, v10, v11                            // 000000007C1C: D2680011 0002170A
	v_cvt_pk_bf16_f32 v18, v12, v13                            // 000000007C24: D2680012 00021B0C
	v_cvt_pk_bf16_f32 v19, v14, v15                            // 000000007C2C: D2680013 00021F0E
	s_nop 1                                                    // 000000007C34: BF800001
	v_permlane16_swap_b32_e32 v16, v18                         // 000000007C38: 7E20B312
	s_nop 1                                                    // 000000007C3C: BF800001
	v_permlane16_swap_b32_e32 v17, v19                         // 000000007C40: 7E22B313
	s_nop 1                                                    // 000000007C44: BF800001
	buffer_store_dwordx4 v[16:19], v246, s[4:7], 0 offen       // 000000007C48: E07C1000 800110F6
	v_add_u32_e32 v246, s62, v246                              // 000000007C50: 69EDEC3E
	v_accvgpr_read_b32 v8, a68                                 // 000000007C54: D3D84008 18000144
	v_accvgpr_read_b32 v9, a69                                 // 000000007C5C: D3D84009 18000145
	v_accvgpr_read_b32 v10, a70                                // 000000007C64: D3D8400A 18000146
	v_accvgpr_read_b32 v11, a71                                // 000000007C6C: D3D8400B 18000147
	v_accvgpr_read_b32 v12, a76                                // 000000007C74: D3D8400C 1800014C
	v_accvgpr_read_b32 v13, a77                                // 000000007C7C: D3D8400D 1800014D
	v_accvgpr_read_b32 v14, a78                                // 000000007C84: D3D8400E 1800014E
	v_accvgpr_read_b32 v15, a79                                // 000000007C8C: D3D8400F 1800014F
	v_cvt_pk_bf16_f32 v16, v8, v9                              // 000000007C94: D2680010 00021308
	v_cvt_pk_bf16_f32 v17, v10, v11                            // 000000007C9C: D2680011 0002170A
	v_cvt_pk_bf16_f32 v18, v12, v13                            // 000000007CA4: D2680012 00021B0C
	v_cvt_pk_bf16_f32 v19, v14, v15                            // 000000007CAC: D2680013 00021F0E
	s_nop 1                                                    // 000000007CB4: BF800001
	v_permlane16_swap_b32_e32 v16, v18                         // 000000007CB8: 7E20B312
	s_nop 1                                                    // 000000007CBC: BF800001
	v_permlane16_swap_b32_e32 v17, v19                         // 000000007CC0: 7E22B313
	s_nop 1                                                    // 000000007CC4: BF800001
	buffer_store_dwordx4 v[16:19], v246, s[4:7], 0 offen       // 000000007CC8: E07C1000 800110F6
	v_add_u32_e32 v246, s62, v246                              // 000000007CD0: 69EDEC3E
	v_accvgpr_read_b32 v8, a192                                // 000000007CD4: D3D84008 180001C0
	v_accvgpr_read_b32 v9, a193                                // 000000007CDC: D3D84009 180001C1
	v_accvgpr_read_b32 v10, a194                               // 000000007CE4: D3D8400A 180001C2
	v_accvgpr_read_b32 v11, a195                               // 000000007CEC: D3D8400B 180001C3
	v_accvgpr_read_b32 v12, a200                               // 000000007CF4: D3D8400C 180001C8
	v_accvgpr_read_b32 v13, a201                               // 000000007CFC: D3D8400D 180001C9
	v_accvgpr_read_b32 v14, a202                               // 000000007D04: D3D8400E 180001CA
	v_accvgpr_read_b32 v15, a203                               // 000000007D0C: D3D8400F 180001CB
	v_cvt_pk_bf16_f32 v16, v8, v9                              // 000000007D14: D2680010 00021308
	v_cvt_pk_bf16_f32 v17, v10, v11                            // 000000007D1C: D2680011 0002170A
	v_cvt_pk_bf16_f32 v18, v12, v13                            // 000000007D24: D2680012 00021B0C
	v_cvt_pk_bf16_f32 v19, v14, v15                            // 000000007D2C: D2680013 00021F0E
	s_nop 1                                                    // 000000007D34: BF800001
	v_permlane16_swap_b32_e32 v16, v18                         // 000000007D38: 7E20B312
	s_nop 1                                                    // 000000007D3C: BF800001
	v_permlane16_swap_b32_e32 v17, v19                         // 000000007D40: 7E22B313
	s_nop 1                                                    // 000000007D44: BF800001
	buffer_store_dwordx4 v[16:19], v246, s[4:7], 0 offen       // 000000007D48: E07C1000 800110F6
	v_add_u32_e32 v246, s62, v246                              // 000000007D50: 69EDEC3E
	v_accvgpr_read_b32 v8, a196                                // 000000007D54: D3D84008 180001C4
	v_accvgpr_read_b32 v9, a197                                // 000000007D5C: D3D84009 180001C5
	v_accvgpr_read_b32 v10, a198                               // 000000007D64: D3D8400A 180001C6
	v_accvgpr_read_b32 v11, a199                               // 000000007D6C: D3D8400B 180001C7
	v_accvgpr_read_b32 v12, a204                               // 000000007D74: D3D8400C 180001CC
	v_accvgpr_read_b32 v13, a205                               // 000000007D7C: D3D8400D 180001CD
	v_accvgpr_read_b32 v14, a206                               // 000000007D84: D3D8400E 180001CE
	v_accvgpr_read_b32 v15, a207                               // 000000007D8C: D3D8400F 180001CF
	v_cvt_pk_bf16_f32 v16, v8, v9                              // 000000007D94: D2680010 00021308
	v_cvt_pk_bf16_f32 v17, v10, v11                            // 000000007D9C: D2680011 0002170A
	v_cvt_pk_bf16_f32 v18, v12, v13                            // 000000007DA4: D2680012 00021B0C
	v_cvt_pk_bf16_f32 v19, v14, v15                            // 000000007DAC: D2680013 00021F0E
	s_nop 1                                                    // 000000007DB4: BF800001
	v_permlane16_swap_b32_e32 v16, v18                         // 000000007DB8: 7E20B312
	s_nop 1                                                    // 000000007DBC: BF800001
	v_permlane16_swap_b32_e32 v17, v19                         // 000000007DC0: 7E22B313
	s_nop 1                                                    // 000000007DC4: BF800001
	buffer_store_dwordx4 v[16:19], v246, s[4:7], 0 offen       // 000000007DC8: E07C1000 800110F6
	v_add_u32_e32 v246, s62, v246                              // 000000007DD0: 69EDEC3E
	s_cmp_lt_i32 s60, s44                                      // 000000007DD4: BF042C3C
	s_cbranch_scc0 label_1604                                  // 000000007DD8: BF84018D
	s_addk_i32 s60, 0x20                                       // 000000007DDC: B73C0020
	v_add_u32_e32 v246, 0x140, v242                            // 000000007DE0: 69EDE4FF 00000140
	v_accvgpr_read_b32 v8, a80                                 // 000000007DE8: D3D84008 18000150
	v_accvgpr_read_b32 v9, a81                                 // 000000007DF0: D3D84009 18000151
	v_accvgpr_read_b32 v10, a82                                // 000000007DF8: D3D8400A 18000152
	v_accvgpr_read_b32 v11, a83                                // 000000007E00: D3D8400B 18000153
	v_accvgpr_read_b32 v12, a88                                // 000000007E08: D3D8400C 18000158
	v_accvgpr_read_b32 v13, a89                                // 000000007E10: D3D8400D 18000159
	v_accvgpr_read_b32 v14, a90                                // 000000007E18: D3D8400E 1800015A
	v_accvgpr_read_b32 v15, a91                                // 000000007E20: D3D8400F 1800015B
	v_cvt_pk_bf16_f32 v16, v8, v9                              // 000000007E28: D2680010 00021308
	v_cvt_pk_bf16_f32 v17, v10, v11                            // 000000007E30: D2680011 0002170A
	v_cvt_pk_bf16_f32 v18, v12, v13                            // 000000007E38: D2680012 00021B0C
	v_cvt_pk_bf16_f32 v19, v14, v15                            // 000000007E40: D2680013 00021F0E
	s_nop 1                                                    // 000000007E48: BF800001
	v_permlane16_swap_b32_e32 v16, v18                         // 000000007E4C: 7E20B312
	s_nop 1                                                    // 000000007E50: BF800001
	v_permlane16_swap_b32_e32 v17, v19                         // 000000007E54: 7E22B313
	s_nop 1                                                    // 000000007E58: BF800001
	buffer_store_dwordx4 v[16:19], v246, s[4:7], 0 offen       // 000000007E5C: E07C1000 800110F6
	v_add_u32_e32 v246, s62, v246                              // 000000007E64: 69EDEC3E
	v_accvgpr_read_b32 v8, a84                                 // 000000007E68: D3D84008 18000154
	v_accvgpr_read_b32 v9, a85                                 // 000000007E70: D3D84009 18000155
	v_accvgpr_read_b32 v10, a86                                // 000000007E78: D3D8400A 18000156
	v_accvgpr_read_b32 v11, a87                                // 000000007E80: D3D8400B 18000157
	v_accvgpr_read_b32 v12, a92                                // 000000007E88: D3D8400C 1800015C
	v_accvgpr_read_b32 v13, a93                                // 000000007E90: D3D8400D 1800015D
	v_accvgpr_read_b32 v14, a94                                // 000000007E98: D3D8400E 1800015E
	v_accvgpr_read_b32 v15, a95                                // 000000007EA0: D3D8400F 1800015F
	v_cvt_pk_bf16_f32 v16, v8, v9                              // 000000007EA8: D2680010 00021308
	v_cvt_pk_bf16_f32 v17, v10, v11                            // 000000007EB0: D2680011 0002170A
	v_cvt_pk_bf16_f32 v18, v12, v13                            // 000000007EB8: D2680012 00021B0C
	v_cvt_pk_bf16_f32 v19, v14, v15                            // 000000007EC0: D2680013 00021F0E
	s_nop 1                                                    // 000000007EC8: BF800001
	v_permlane16_swap_b32_e32 v16, v18                         // 000000007ECC: 7E20B312
	s_nop 1                                                    // 000000007ED0: BF800001
	v_permlane16_swap_b32_e32 v17, v19                         // 000000007ED4: 7E22B313
	s_nop 1                                                    // 000000007ED8: BF800001
	buffer_store_dwordx4 v[16:19], v246, s[4:7], 0 offen       // 000000007EDC: E07C1000 800110F6
	v_add_u32_e32 v246, s62, v246                              // 000000007EE4: 69EDEC3E
	v_accvgpr_read_b32 v8, a208                                // 000000007EE8: D3D84008 180001D0
	v_accvgpr_read_b32 v9, a209                                // 000000007EF0: D3D84009 180001D1
	v_accvgpr_read_b32 v10, a210                               // 000000007EF8: D3D8400A 180001D2
	v_accvgpr_read_b32 v11, a211                               // 000000007F00: D3D8400B 180001D3
	v_accvgpr_read_b32 v12, a216                               // 000000007F08: D3D8400C 180001D8
	v_accvgpr_read_b32 v13, a217                               // 000000007F10: D3D8400D 180001D9
	v_accvgpr_read_b32 v14, a218                               // 000000007F18: D3D8400E 180001DA
	v_accvgpr_read_b32 v15, a219                               // 000000007F20: D3D8400F 180001DB
	v_cvt_pk_bf16_f32 v16, v8, v9                              // 000000007F28: D2680010 00021308
	v_cvt_pk_bf16_f32 v17, v10, v11                            // 000000007F30: D2680011 0002170A
	v_cvt_pk_bf16_f32 v18, v12, v13                            // 000000007F38: D2680012 00021B0C
	v_cvt_pk_bf16_f32 v19, v14, v15                            // 000000007F40: D2680013 00021F0E
	s_nop 1                                                    // 000000007F48: BF800001
	v_permlane16_swap_b32_e32 v16, v18                         // 000000007F4C: 7E20B312
	s_nop 1                                                    // 000000007F50: BF800001
	v_permlane16_swap_b32_e32 v17, v19                         // 000000007F54: 7E22B313
	s_nop 1                                                    // 000000007F58: BF800001
	buffer_store_dwordx4 v[16:19], v246, s[4:7], 0 offen       // 000000007F5C: E07C1000 800110F6
	v_add_u32_e32 v246, s62, v246                              // 000000007F64: 69EDEC3E
	v_accvgpr_read_b32 v8, a212                                // 000000007F68: D3D84008 180001D4
	v_accvgpr_read_b32 v9, a213                                // 000000007F70: D3D84009 180001D5
	v_accvgpr_read_b32 v10, a214                               // 000000007F78: D3D8400A 180001D6
	v_accvgpr_read_b32 v11, a215                               // 000000007F80: D3D8400B 180001D7
	v_accvgpr_read_b32 v12, a220                               // 000000007F88: D3D8400C 180001DC
	v_accvgpr_read_b32 v13, a221                               // 000000007F90: D3D8400D 180001DD
	v_accvgpr_read_b32 v14, a222                               // 000000007F98: D3D8400E 180001DE
	v_accvgpr_read_b32 v15, a223                               // 000000007FA0: D3D8400F 180001DF
	v_cvt_pk_bf16_f32 v16, v8, v9                              // 000000007FA8: D2680010 00021308
	v_cvt_pk_bf16_f32 v17, v10, v11                            // 000000007FB0: D2680011 0002170A
	v_cvt_pk_bf16_f32 v18, v12, v13                            // 000000007FB8: D2680012 00021B0C
	v_cvt_pk_bf16_f32 v19, v14, v15                            // 000000007FC0: D2680013 00021F0E
	s_nop 1                                                    // 000000007FC8: BF800001
	v_permlane16_swap_b32_e32 v16, v18                         // 000000007FCC: 7E20B312
	s_nop 1                                                    // 000000007FD0: BF800001
	v_permlane16_swap_b32_e32 v17, v19                         // 000000007FD4: 7E22B313
	s_nop 1                                                    // 000000007FD8: BF800001
	buffer_store_dwordx4 v[16:19], v246, s[4:7], 0 offen       // 000000007FDC: E07C1000 800110F6
	v_add_u32_e32 v246, s62, v246                              // 000000007FE4: 69EDEC3E
	s_cmp_lt_i32 s60, s44                                      // 000000007FE8: BF042C3C
	s_cbranch_scc0 label_1604                                  // 000000007FEC: BF840108
	s_addk_i32 s60, 0x20                                       // 000000007FF0: B73C0020
	v_add_u32_e32 v246, 0x180, v242                            // 000000007FF4: 69EDE4FF 00000180
	v_accvgpr_read_b32 v8, a96                                 // 000000007FFC: D3D84008 18000160
	v_accvgpr_read_b32 v9, a97                                 // 000000008004: D3D84009 18000161
	v_accvgpr_read_b32 v10, a98                                // 00000000800C: D3D8400A 18000162
	v_accvgpr_read_b32 v11, a99                                // 000000008014: D3D8400B 18000163
	v_accvgpr_read_b32 v12, a104                               // 00000000801C: D3D8400C 18000168
	v_accvgpr_read_b32 v13, a105                               // 000000008024: D3D8400D 18000169
	v_accvgpr_read_b32 v14, a106                               // 00000000802C: D3D8400E 1800016A
	v_accvgpr_read_b32 v15, a107                               // 000000008034: D3D8400F 1800016B
	v_cvt_pk_bf16_f32 v16, v8, v9                              // 00000000803C: D2680010 00021308
	v_cvt_pk_bf16_f32 v17, v10, v11                            // 000000008044: D2680011 0002170A
	v_cvt_pk_bf16_f32 v18, v12, v13                            // 00000000804C: D2680012 00021B0C
	v_cvt_pk_bf16_f32 v19, v14, v15                            // 000000008054: D2680013 00021F0E
	s_nop 1                                                    // 00000000805C: BF800001
	v_permlane16_swap_b32_e32 v16, v18                         // 000000008060: 7E20B312
	s_nop 1                                                    // 000000008064: BF800001
	v_permlane16_swap_b32_e32 v17, v19                         // 000000008068: 7E22B313
	s_nop 1                                                    // 00000000806C: BF800001
	buffer_store_dwordx4 v[16:19], v246, s[4:7], 0 offen       // 000000008070: E07C1000 800110F6
	v_add_u32_e32 v246, s62, v246                              // 000000008078: 69EDEC3E
	v_accvgpr_read_b32 v8, a100                                // 00000000807C: D3D84008 18000164
	v_accvgpr_read_b32 v9, a101                                // 000000008084: D3D84009 18000165
	v_accvgpr_read_b32 v10, a102                               // 00000000808C: D3D8400A 18000166
	v_accvgpr_read_b32 v11, a103                               // 000000008094: D3D8400B 18000167
	v_accvgpr_read_b32 v12, a108                               // 00000000809C: D3D8400C 1800016C
	v_accvgpr_read_b32 v13, a109                               // 0000000080A4: D3D8400D 1800016D
	v_accvgpr_read_b32 v14, a110                               // 0000000080AC: D3D8400E 1800016E
	v_accvgpr_read_b32 v15, a111                               // 0000000080B4: D3D8400F 1800016F
	v_cvt_pk_bf16_f32 v16, v8, v9                              // 0000000080BC: D2680010 00021308
	v_cvt_pk_bf16_f32 v17, v10, v11                            // 0000000080C4: D2680011 0002170A
	v_cvt_pk_bf16_f32 v18, v12, v13                            // 0000000080CC: D2680012 00021B0C
	v_cvt_pk_bf16_f32 v19, v14, v15                            // 0000000080D4: D2680013 00021F0E
	s_nop 1                                                    // 0000000080DC: BF800001
	v_permlane16_swap_b32_e32 v16, v18                         // 0000000080E0: 7E20B312
	s_nop 1                                                    // 0000000080E4: BF800001
	v_permlane16_swap_b32_e32 v17, v19                         // 0000000080E8: 7E22B313
	s_nop 1                                                    // 0000000080EC: BF800001
	buffer_store_dwordx4 v[16:19], v246, s[4:7], 0 offen       // 0000000080F0: E07C1000 800110F6
	v_add_u32_e32 v246, s62, v246                              // 0000000080F8: 69EDEC3E
	v_accvgpr_read_b32 v8, a224                                // 0000000080FC: D3D84008 180001E0
	v_accvgpr_read_b32 v9, a225                                // 000000008104: D3D84009 180001E1
	v_accvgpr_read_b32 v10, a226                               // 00000000810C: D3D8400A 180001E2
	v_accvgpr_read_b32 v11, a227                               // 000000008114: D3D8400B 180001E3
	v_accvgpr_read_b32 v12, a232                               // 00000000811C: D3D8400C 180001E8
	v_accvgpr_read_b32 v13, a233                               // 000000008124: D3D8400D 180001E9
	v_accvgpr_read_b32 v14, a234                               // 00000000812C: D3D8400E 180001EA
	v_accvgpr_read_b32 v15, a235                               // 000000008134: D3D8400F 180001EB
	v_cvt_pk_bf16_f32 v16, v8, v9                              // 00000000813C: D2680010 00021308
	v_cvt_pk_bf16_f32 v17, v10, v11                            // 000000008144: D2680011 0002170A
	v_cvt_pk_bf16_f32 v18, v12, v13                            // 00000000814C: D2680012 00021B0C
	v_cvt_pk_bf16_f32 v19, v14, v15                            // 000000008154: D2680013 00021F0E
	s_nop 1                                                    // 00000000815C: BF800001
	v_permlane16_swap_b32_e32 v16, v18                         // 000000008160: 7E20B312
	s_nop 1                                                    // 000000008164: BF800001
	v_permlane16_swap_b32_e32 v17, v19                         // 000000008168: 7E22B313
	s_nop 1                                                    // 00000000816C: BF800001
	buffer_store_dwordx4 v[16:19], v246, s[4:7], 0 offen       // 000000008170: E07C1000 800110F6
	v_add_u32_e32 v246, s62, v246                              // 000000008178: 69EDEC3E
	v_accvgpr_read_b32 v8, a228                                // 00000000817C: D3D84008 180001E4
	v_accvgpr_read_b32 v9, a229                                // 000000008184: D3D84009 180001E5
	v_accvgpr_read_b32 v10, a230                               // 00000000818C: D3D8400A 180001E6
	v_accvgpr_read_b32 v11, a231                               // 000000008194: D3D8400B 180001E7
	v_accvgpr_read_b32 v12, a236                               // 00000000819C: D3D8400C 180001EC
	v_accvgpr_read_b32 v13, a237                               // 0000000081A4: D3D8400D 180001ED
	v_accvgpr_read_b32 v14, a238                               // 0000000081AC: D3D8400E 180001EE
	v_accvgpr_read_b32 v15, a239                               // 0000000081B4: D3D8400F 180001EF
	v_cvt_pk_bf16_f32 v16, v8, v9                              // 0000000081BC: D2680010 00021308
	v_cvt_pk_bf16_f32 v17, v10, v11                            // 0000000081C4: D2680011 0002170A
	v_cvt_pk_bf16_f32 v18, v12, v13                            // 0000000081CC: D2680012 00021B0C
	v_cvt_pk_bf16_f32 v19, v14, v15                            // 0000000081D4: D2680013 00021F0E
	s_nop 1                                                    // 0000000081DC: BF800001
	v_permlane16_swap_b32_e32 v16, v18                         // 0000000081E0: 7E20B312
	s_nop 1                                                    // 0000000081E4: BF800001
	v_permlane16_swap_b32_e32 v17, v19                         // 0000000081E8: 7E22B313
	s_nop 1                                                    // 0000000081EC: BF800001
	buffer_store_dwordx4 v[16:19], v246, s[4:7], 0 offen       // 0000000081F0: E07C1000 800110F6
	v_add_u32_e32 v246, s62, v246                              // 0000000081F8: 69EDEC3E
	s_cmp_lt_i32 s60, s44                                      // 0000000081FC: BF042C3C
	s_cbranch_scc0 label_1604                                  // 000000008200: BF840083
	s_addk_i32 s60, 0x20                                       // 000000008204: B73C0020
	v_add_u32_e32 v246, 0x1c0, v242                            // 000000008208: 69EDE4FF 000001C0
	v_accvgpr_read_b32 v8, a112                                // 000000008210: D3D84008 18000170
	v_accvgpr_read_b32 v9, a113                                // 000000008218: D3D84009 18000171
	v_accvgpr_read_b32 v10, a114                               // 000000008220: D3D8400A 18000172
	v_accvgpr_read_b32 v11, a115                               // 000000008228: D3D8400B 18000173
	v_accvgpr_read_b32 v12, a120                               // 000000008230: D3D8400C 18000178
	v_accvgpr_read_b32 v13, a121                               // 000000008238: D3D8400D 18000179
	v_accvgpr_read_b32 v14, a122                               // 000000008240: D3D8400E 1800017A
	v_accvgpr_read_b32 v15, a123                               // 000000008248: D3D8400F 1800017B
	v_cvt_pk_bf16_f32 v16, v8, v9                              // 000000008250: D2680010 00021308
	v_cvt_pk_bf16_f32 v17, v10, v11                            // 000000008258: D2680011 0002170A
	v_cvt_pk_bf16_f32 v18, v12, v13                            // 000000008260: D2680012 00021B0C
	v_cvt_pk_bf16_f32 v19, v14, v15                            // 000000008268: D2680013 00021F0E
	s_nop 1                                                    // 000000008270: BF800001
	v_permlane16_swap_b32_e32 v16, v18                         // 000000008274: 7E20B312
	s_nop 1                                                    // 000000008278: BF800001
	v_permlane16_swap_b32_e32 v17, v19                         // 00000000827C: 7E22B313
	s_nop 1                                                    // 000000008280: BF800001
	buffer_store_dwordx4 v[16:19], v246, s[4:7], 0 offen       // 000000008284: E07C1000 800110F6
	v_add_u32_e32 v246, s62, v246                              // 00000000828C: 69EDEC3E
	v_accvgpr_read_b32 v8, a116                                // 000000008290: D3D84008 18000174
	v_accvgpr_read_b32 v9, a117                                // 000000008298: D3D84009 18000175
	v_accvgpr_read_b32 v10, a118                               // 0000000082A0: D3D8400A 18000176
	v_accvgpr_read_b32 v11, a119                               // 0000000082A8: D3D8400B 18000177
	v_accvgpr_read_b32 v12, a124                               // 0000000082B0: D3D8400C 1800017C
	v_accvgpr_read_b32 v13, a125                               // 0000000082B8: D3D8400D 1800017D
	v_accvgpr_read_b32 v14, a126                               // 0000000082C0: D3D8400E 1800017E
	v_accvgpr_read_b32 v15, a127                               // 0000000082C8: D3D8400F 1800017F
	v_cvt_pk_bf16_f32 v16, v8, v9                              // 0000000082D0: D2680010 00021308
	v_cvt_pk_bf16_f32 v17, v10, v11                            // 0000000082D8: D2680011 0002170A
	v_cvt_pk_bf16_f32 v18, v12, v13                            // 0000000082E0: D2680012 00021B0C
	v_cvt_pk_bf16_f32 v19, v14, v15                            // 0000000082E8: D2680013 00021F0E
	s_nop 1                                                    // 0000000082F0: BF800001
	v_permlane16_swap_b32_e32 v16, v18                         // 0000000082F4: 7E20B312
	s_nop 1                                                    // 0000000082F8: BF800001
	v_permlane16_swap_b32_e32 v17, v19                         // 0000000082FC: 7E22B313
	s_nop 1                                                    // 000000008300: BF800001
	buffer_store_dwordx4 v[16:19], v246, s[4:7], 0 offen       // 000000008304: E07C1000 800110F6
	v_add_u32_e32 v246, s62, v246                              // 00000000830C: 69EDEC3E
	v_accvgpr_read_b32 v8, a240                                // 000000008310: D3D84008 180001F0
	v_accvgpr_read_b32 v9, a241                                // 000000008318: D3D84009 180001F1
	v_accvgpr_read_b32 v10, a242                               // 000000008320: D3D8400A 180001F2
	v_accvgpr_read_b32 v11, a243                               // 000000008328: D3D8400B 180001F3
	v_accvgpr_read_b32 v12, a248                               // 000000008330: D3D8400C 180001F8
	v_accvgpr_read_b32 v13, a249                               // 000000008338: D3D8400D 180001F9
	v_accvgpr_read_b32 v14, a250                               // 000000008340: D3D8400E 180001FA
	v_accvgpr_read_b32 v15, a251                               // 000000008348: D3D8400F 180001FB
	v_cvt_pk_bf16_f32 v16, v8, v9                              // 000000008350: D2680010 00021308
	v_cvt_pk_bf16_f32 v17, v10, v11                            // 000000008358: D2680011 0002170A
	v_cvt_pk_bf16_f32 v18, v12, v13                            // 000000008360: D2680012 00021B0C
	v_cvt_pk_bf16_f32 v19, v14, v15                            // 000000008368: D2680013 00021F0E
	s_nop 1                                                    // 000000008370: BF800001
	v_permlane16_swap_b32_e32 v16, v18                         // 000000008374: 7E20B312
	s_nop 1                                                    // 000000008378: BF800001
	v_permlane16_swap_b32_e32 v17, v19                         // 00000000837C: 7E22B313
	s_nop 1                                                    // 000000008380: BF800001
	buffer_store_dwordx4 v[16:19], v246, s[4:7], 0 offen       // 000000008384: E07C1000 800110F6
	v_add_u32_e32 v246, s62, v246                              // 00000000838C: 69EDEC3E
	v_accvgpr_read_b32 v8, a244                                // 000000008390: D3D84008 180001F4
	v_accvgpr_read_b32 v9, a245                                // 000000008398: D3D84009 180001F5
	v_accvgpr_read_b32 v10, a246                               // 0000000083A0: D3D8400A 180001F6
	v_accvgpr_read_b32 v11, a247                               // 0000000083A8: D3D8400B 180001F7
	v_accvgpr_read_b32 v12, a252                               // 0000000083B0: D3D8400C 180001FC
	v_accvgpr_read_b32 v13, a253                               // 0000000083B8: D3D8400D 180001FD
	v_accvgpr_read_b32 v14, a254                               // 0000000083C0: D3D8400E 180001FE
	v_accvgpr_read_b32 v15, a255                               // 0000000083C8: D3D8400F 180001FF
	v_cvt_pk_bf16_f32 v16, v8, v9                              // 0000000083D0: D2680010 00021308
	v_cvt_pk_bf16_f32 v17, v10, v11                            // 0000000083D8: D2680011 0002170A
	v_cvt_pk_bf16_f32 v18, v12, v13                            // 0000000083E0: D2680012 00021B0C
	v_cvt_pk_bf16_f32 v19, v14, v15                            // 0000000083E8: D2680013 00021F0E
	s_nop 1                                                    // 0000000083F0: BF800001
	v_permlane16_swap_b32_e32 v16, v18                         // 0000000083F4: 7E20B312
	s_nop 1                                                    // 0000000083F8: BF800001
	v_permlane16_swap_b32_e32 v17, v19                         // 0000000083FC: 7E22B313
	s_nop 1                                                    // 000000008400: BF800001
	buffer_store_dwordx4 v[16:19], v246, s[4:7], 0 offen       // 000000008404: E07C1000 800110F6
	v_add_u32_e32 v246, s62, v246                              // 00000000840C: 69EDEC3E

0000000000008410 <label_1604>:
	s_waitcnt vmcnt(0) expcnt(0) lgkmcnt(0)                    // 000000008410: BF8C0000
	s_endpgm                                                   // 000000008414: BF810000
